;; amdgpu-corpus repo=pytorch/pytorch kind=compiled arch=gfx906 opt=O3
	.amdgcn_target "amdgcn-amd-amdhsa--gfx906"
	.amdhsa_code_object_version 6
	.section	.text._ZN2at6native12_GLOBAL__N_125multi_tensor_apply_kernelINS1_32FusedOptimizerTensorListMetadataILi4EEENS1_22FusedAdamMathFunctorMPIfffN3c108BFloat16ES7_fLi4ELNS0_9ADAM_MODEE1ELb0EEEJPKfdddddbSB_SB_EEEvT_T0_DpT1_,"axG",@progbits,_ZN2at6native12_GLOBAL__N_125multi_tensor_apply_kernelINS1_32FusedOptimizerTensorListMetadataILi4EEENS1_22FusedAdamMathFunctorMPIfffN3c108BFloat16ES7_fLi4ELNS0_9ADAM_MODEE1ELb0EEEJPKfdddddbSB_SB_EEEvT_T0_DpT1_,comdat
	.globl	_ZN2at6native12_GLOBAL__N_125multi_tensor_apply_kernelINS1_32FusedOptimizerTensorListMetadataILi4EEENS1_22FusedAdamMathFunctorMPIfffN3c108BFloat16ES7_fLi4ELNS0_9ADAM_MODEE1ELb0EEEJPKfdddddbSB_SB_EEEvT_T0_DpT1_ ; -- Begin function _ZN2at6native12_GLOBAL__N_125multi_tensor_apply_kernelINS1_32FusedOptimizerTensorListMetadataILi4EEENS1_22FusedAdamMathFunctorMPIfffN3c108BFloat16ES7_fLi4ELNS0_9ADAM_MODEE1ELb0EEEJPKfdddddbSB_SB_EEEvT_T0_DpT1_
	.p2align	8
	.type	_ZN2at6native12_GLOBAL__N_125multi_tensor_apply_kernelINS1_32FusedOptimizerTensorListMetadataILi4EEENS1_22FusedAdamMathFunctorMPIfffN3c108BFloat16ES7_fLi4ELNS0_9ADAM_MODEE1ELb0EEEJPKfdddddbSB_SB_EEEvT_T0_DpT1_,@function
_ZN2at6native12_GLOBAL__N_125multi_tensor_apply_kernelINS1_32FusedOptimizerTensorListMetadataILi4EEENS1_22FusedAdamMathFunctorMPIfffN3c108BFloat16ES7_fLi4ELNS0_9ADAM_MODEE1ELb0EEEJPKfdddddbSB_SB_EEEvT_T0_DpT1_: ; @_ZN2at6native12_GLOBAL__N_125multi_tensor_apply_kernelINS1_32FusedOptimizerTensorListMetadataILi4EEENS1_22FusedAdamMathFunctorMPIfffN3c108BFloat16ES7_fLi4ELNS0_9ADAM_MODEE1ELb0EEEJPKfdddddbSB_SB_EEEvT_T0_DpT1_
; %bb.0:
	v_mov_b32_e32 v1, s6
	global_load_ubyte v1, v1, s[4:5] offset:1728
	s_load_dwordx4 s[20:23], s[4:5], 0xd30
	s_load_dwordx8 s[8:15], s[4:5], 0xd10
	s_add_u32 s0, s4, s6
	s_mul_hi_u32 s1, s6, 3
	s_mul_i32 s6, s6, 3
	s_addc_u32 s2, s5, 0
	s_add_u32 s0, s0, s6
	s_addc_u32 s1, s2, s1
	s_waitcnt lgkmcnt(0)
	s_cmp_eq_u64 s[8:9], 0
	s_mov_b64 s[2:3], 0
	s_waitcnt vmcnt(0)
	v_readfirstlane_b32 s6, v1
	s_cbranch_scc1 .LBB0_20
; %bb.1:
	s_load_dword s7, s[8:9], 0x0
	s_andn2_b64 vcc, exec, s[2:3]
	s_waitcnt lgkmcnt(0)
	v_mov_b32_e32 v25, s7
	s_cbranch_vccnz .LBB0_3
.LBB0_2:
	v_cvt_f32_f64_e32 v25, s[10:11]
.LBB0_3:
	s_load_dwordx4 s[16:19], s[4:5], 0xd48
	s_waitcnt lgkmcnt(0)
	s_cmp_eq_u64 s[18:19], 0
	s_cselect_b64 s[2:3], -1, 0
	s_and_b64 vcc, exec, s[2:3]
	s_cbranch_vccnz .LBB0_5
; %bb.4:
	s_load_dword s2, s[18:19], 0x0
	s_waitcnt lgkmcnt(0)
	v_cmp_neq_f32_e64 s[2:3], s2, 1.0
.LBB0_5:
	s_andn2_b64 vcc, exec, s[2:3]
	s_cbranch_vccnz .LBB0_82
; %bb.6:
	s_load_dword s2, s[4:5], 0xd40
	v_cmp_neq_f64_e64 vcc, s[12:13], 1.0
	v_mov_b32_e32 v28, 0x3ff00000
	s_mov_b32 s28, 0x55555555
	s_mov_b32 s29, 0x3fe55555
	s_waitcnt lgkmcnt(0)
	s_bitcmp1_b32 s2, 0
	s_cselect_b64 s[18:19], -1, 0
	s_and_b32 s2, s6, 0xff
	s_lshl_b32 s27, s2, 3
	s_load_dwordx2 s[2:3], s[4:5], s27 offset:0x5a0
	s_load_dword s26, s[0:1], 0x800
	s_load_dwordx2 s[30:31], s[4:5], s27 offset:0x480
	s_mov_b32 s34, 0x4222de17
	s_mov_b32 s35, 0x3fbdee67
	s_waitcnt lgkmcnt(0)
	s_load_dword s0, s[2:3], 0x0
	s_mov_b32 s36, 0x3abe935a
	s_mov_b32 s37, 0x3fbe25e4
	;; [unrolled: 1-line block ×4, first 2 shown]
	s_waitcnt lgkmcnt(0)
	v_cvt_f64_f32_e32 v[7:8], s0
	s_mov_b32 s40, 0xcfa74449
	s_mov_b32 s41, 0x3fc3b13b
	;; [unrolled: 1-line block ×3, first 2 shown]
	v_cndmask_b32_e32 v2, v28, v8, vcc
	v_cndmask_b32_e32 v1, 0, v7, vcc
	v_cmp_neq_f64_e32 vcc, 0, v[1:2]
	s_mov_b32 s43, 0x3fc745d1
	s_mov_b32 s44, 0x1c7792ce
	;; [unrolled: 1-line block ×7, first 2 shown]
	s_and_b64 s[0:1], vcc, exec
	s_cselect_b32 s25, s13, 0x3ff00000
	s_cselect_b32 s24, s12, 0
	v_frexp_mant_f64_e64 v[3:4], |s[24:25]|
	s_mov_b32 s0, 0x968915a9
	s_mov_b32 s1, 0x3fba6564
	;; [unrolled: 1-line block ×7, first 2 shown]
	v_cmp_gt_f64_e32 vcc, s[28:29], v[3:4]
	s_mov_b32 s53, 0x3fe62e42
	s_mov_b32 s58, 0x3b39803f
	;; [unrolled: 1-line block ×3, first 2 shown]
	s_movk_i32 s33, 0x204
	s_mov_b32 s60, 0x652b82fe
	s_mov_b32 s61, 0x3ff71547
	;; [unrolled: 1-line block ×3, first 2 shown]
	v_cndmask_b32_e64 v5, 0, 1, vcc
	v_ldexp_f64 v[3:4], v[3:4], v5
	s_mov_b32 s62, s52
	s_mov_b32 s65, 0xbc7abc9e
	;; [unrolled: 1-line block ×7, first 2 shown]
	v_add_f64 v[5:6], v[3:4], 1.0
	v_add_f64 v[13:14], v[3:4], -1.0
	s_mov_b32 s70, 0x7c89e6b0
	s_mov_b32 s71, 0x3efa0199
	;; [unrolled: 1-line block ×6, first 2 shown]
	v_rcp_f64_e32 v[9:10], v[5:6]
	v_add_f64 v[15:16], v[5:6], -1.0
	s_mov_b32 s78, 0x11122322
	s_mov_b32 s79, 0x3f811111
	;; [unrolled: 1-line block ×7, first 2 shown]
	v_add_f64 v[3:4], v[3:4], -v[15:16]
	s_mov_b32 s89, 0x3fe00000
	s_mov_b32 s76, 0
	;; [unrolled: 1-line block ×6, first 2 shown]
	v_fma_f64 v[11:12], -v[5:6], v[9:10], 1.0
	s_mov_b32 s81, 0xc090cc00
	v_cmp_neq_f64_e64 s[56:57], v[1:2], |v[1:2]|
	v_cmp_lt_f64_e64 s[90:91], |s[24:25]|, 1.0
	v_mov_b32_e32 v32, 0x7ff00000
	s_brev_b32 s92, -2
	v_mov_b32_e32 v33, 0x204
	v_cmp_gt_f64_e64 s[10:11], 0, v[1:2]
	v_fma_f64 v[9:10], v[11:12], v[9:10], v[9:10]
	v_fma_f64 v[11:12], -v[5:6], v[9:10], 1.0
	v_fma_f64 v[9:10], v[11:12], v[9:10], v[9:10]
	v_mul_f64 v[11:12], v[13:14], v[9:10]
	v_mul_f64 v[17:18], v[5:6], v[11:12]
	v_fma_f64 v[5:6], v[11:12], v[5:6], -v[17:18]
	v_fma_f64 v[3:4], v[11:12], v[3:4], v[5:6]
	v_add_f64 v[5:6], v[17:18], v[3:4]
	v_add_f64 v[15:16], v[13:14], -v[5:6]
	v_add_f64 v[17:18], v[5:6], -v[17:18]
	v_add_f64 v[13:14], v[13:14], -v[15:16]
	v_add_f64 v[3:4], v[17:18], -v[3:4]
	v_add_f64 v[5:6], v[13:14], -v[5:6]
	v_add_f64 v[3:4], v[3:4], v[5:6]
	v_add_f64 v[3:4], v[15:16], v[3:4]
	v_mul_f64 v[3:4], v[9:10], v[3:4]
	v_add_f64 v[5:6], v[11:12], v[3:4]
	v_add_f64 v[9:10], v[5:6], -v[11:12]
	v_mul_f64 v[11:12], v[5:6], v[5:6]
	v_add_f64 v[9:10], v[3:4], -v[9:10]
	v_fma_f64 v[3:4], v[5:6], v[5:6], -v[11:12]
	v_add_f64 v[13:14], v[9:10], v[9:10]
	v_fma_f64 v[13:14], v[5:6], v[13:14], v[3:4]
	v_mov_b32_e32 v4, s1
	v_mov_b32_e32 v3, s0
	s_mov_b32 s0, 0xfca7ab0c
	s_mov_b32 s1, 0x3e928af3
	v_add_f64 v[15:16], v[11:12], v[13:14]
	v_fma_f64 v[17:18], v[15:16], s[34:35], v[3:4]
	v_add_f64 v[11:12], v[15:16], -v[11:12]
	v_mul_f64 v[23:24], v[5:6], v[15:16]
	v_fma_f64 v[17:18], v[15:16], v[17:18], s[36:37]
	v_add_f64 v[11:12], v[13:14], -v[11:12]
	v_fma_f64 v[17:18], v[15:16], v[17:18], s[38:39]
	v_fma_f64 v[17:18], v[15:16], v[17:18], s[40:41]
	;; [unrolled: 1-line block ×6, first 2 shown]
	v_mul_f64 v[19:20], v[15:16], v[17:18]
	v_fma_f64 v[13:14], v[15:16], v[17:18], -v[19:20]
	v_fma_f64 v[13:14], v[11:12], v[17:18], v[13:14]
	v_add_f64 v[17:18], v[19:20], v[13:14]
	v_add_f64 v[21:22], v[17:18], s[28:29]
	v_add_f64 v[19:20], v[17:18], -v[19:20]
	v_add_f64 v[26:27], v[21:22], s[50:51]
	v_add_f64 v[13:14], v[13:14], -v[19:20]
	v_fma_f64 v[19:20], v[15:16], v[5:6], -v[23:24]
	v_add_f64 v[17:18], v[17:18], -v[26:27]
	v_add_f64 v[13:14], v[13:14], s[54:55]
	v_fma_f64 v[15:16], v[15:16], v[9:10], v[19:20]
	v_ldexp_f64 v[9:10], v[9:10], 1
	v_mul_f64 v[26:27], v[1:2], 0.5
	v_add_f64 v[13:14], v[13:14], v[17:18]
	v_fma_f64 v[11:12], v[11:12], v[5:6], v[15:16]
	v_ldexp_f64 v[5:6], v[5:6], 1
	v_add_f64 v[15:16], v[21:22], v[13:14]
	v_add_f64 v[17:18], v[23:24], v[11:12]
	v_add_f64 v[19:20], v[21:22], -v[15:16]
	v_mul_f64 v[21:22], v[17:18], v[15:16]
	v_add_f64 v[23:24], v[17:18], -v[23:24]
	v_add_f64 v[13:14], v[13:14], v[19:20]
	v_fma_f64 v[19:20], v[17:18], v[15:16], -v[21:22]
	v_add_f64 v[11:12], v[11:12], -v[23:24]
	v_fma_f64 v[13:14], v[17:18], v[13:14], v[19:20]
	v_fma_f64 v[11:12], v[11:12], v[15:16], v[13:14]
	v_frexp_exp_i32_f64_e32 v15, s[24:25]
	v_add_f64 v[13:14], v[21:22], v[11:12]
	v_subbrev_co_u32_e32 v19, vcc, 0, v15, vcc
	v_cvt_f64_i32_e32 v[19:20], v19
	v_add_f64 v[15:16], v[5:6], v[13:14]
	v_add_f64 v[17:18], v[13:14], -v[21:22]
	v_mul_f64 v[21:22], v[19:20], s[52:53]
	v_add_f64 v[5:6], v[15:16], -v[5:6]
	v_add_f64 v[11:12], v[11:12], -v[17:18]
	v_fma_f64 v[17:18], v[19:20], s[52:53], -v[21:22]
	v_add_f64 v[5:6], v[13:14], -v[5:6]
	v_add_f64 v[9:10], v[9:10], v[11:12]
	v_fma_f64 v[11:12], v[19:20], s[58:59], v[17:18]
	v_add_f64 v[5:6], v[9:10], v[5:6]
	v_add_f64 v[9:10], v[21:22], v[11:12]
	;; [unrolled: 1-line block ×3, first 2 shown]
	v_add_f64 v[21:22], v[9:10], -v[21:22]
	v_add_f64 v[17:18], v[9:10], v[13:14]
	v_add_f64 v[15:16], v[13:14], -v[15:16]
	v_add_f64 v[11:12], v[11:12], -v[21:22]
	v_mov_b32_e32 v22, s1
	v_mov_b32_e32 v21, s0
	v_add_f64 v[19:20], v[17:18], -v[9:10]
	v_add_f64 v[5:6], v[5:6], -v[15:16]
	;; [unrolled: 1-line block ×4, first 2 shown]
	v_add_f64 v[15:16], v[11:12], v[5:6]
	v_add_f64 v[9:10], v[9:10], -v[23:24]
	v_add_f64 v[9:10], v[13:14], v[9:10]
	v_add_f64 v[13:14], v[15:16], -v[11:12]
	;; [unrolled: 2-line block ×3, first 2 shown]
	v_add_f64 v[5:6], v[5:6], -v[13:14]
	v_add_f64 v[19:20], v[17:18], v[9:10]
	v_add_f64 v[11:12], v[11:12], -v[15:16]
	v_add_f64 v[13:14], v[19:20], -v[17:18]
	v_add_f64 v[5:6], v[5:6], v[11:12]
	v_add_f64 v[9:10], v[9:10], -v[13:14]
	v_add_f64 v[5:6], v[5:6], v[9:10]
	v_add_f64 v[9:10], v[19:20], v[5:6]
	v_add_f64 v[11:12], v[9:10], -v[19:20]
	v_mul_f64 v[13:14], v[1:2], v[9:10]
	v_add_f64 v[5:6], v[5:6], -v[11:12]
	v_fma_f64 v[9:10], v[1:2], v[9:10], -v[13:14]
	v_cmp_class_f64_e64 vcc, v[13:14], s33
	v_fma_f64 v[9:10], v[1:2], v[5:6], v[9:10]
	v_add_f64 v[11:12], v[13:14], v[9:10]
	v_cndmask_b32_e32 v16, v12, v14, vcc
	v_cndmask_b32_e32 v15, v11, v13, vcc
	v_mul_f64 v[5:6], v[15:16], s[60:61]
	v_cmp_neq_f64_e64 vcc, s[14:15], 1.0
	v_add_f64 v[11:12], v[11:12], -v[13:14]
	v_trunc_f64_e32 v[13:14], v[26:27]
	v_cmp_neq_f64_e64 s[0:1], |v[15:16]|, s[76:77]
	v_cmp_nlt_f64_e64 s[6:7], s[82:83], v[15:16]
	v_cmp_ngt_f64_e64 s[8:9], s[80:81], v[15:16]
	v_rndne_f64_e32 v[17:18], v[5:6]
	v_cmp_neq_f64_e64 s[2:3], v[13:14], v[26:27]
	v_fma_f64 v[5:6], v[17:18], s[62:63], v[15:16]
	v_fma_f64 v[19:20], v[17:18], s[64:65], v[5:6]
	;; [unrolled: 1-line block ×11, first 2 shown]
	v_fma_f64 v[23:24], v[19:20], v[5:6], 1.0
	v_cvt_i32_f64_e32 v5, v[17:18]
	v_mov_b32_e32 v6, 0x7ff80000
	v_fma_f64 v[19:20], v[19:20], v[23:24], 1.0
	v_trunc_f64_e32 v[23:24], v[1:2]
	v_ldexp_f64 v[17:18], v[19:20], v5
	v_cndmask_b32_e32 v20, v28, v8, vcc
	v_cndmask_b32_e32 v19, 0, v7, vcc
	v_cmp_eq_f64_e32 vcc, v[23:24], v[1:2]
	v_add_f64 v[7:8], v[9:10], -v[11:12]
	v_cndmask_b32_e64 v5, v32, v18, s[6:7]
	v_cndmask_b32_e64 v10, 0, v5, s[8:9]
	s_and_b64 s[94:95], vcc, s[2:3]
	v_cndmask_b32_e64 v8, 0, v8, s[0:1]
	v_cndmask_b32_e64 v7, 0, v7, s[0:1]
	s_and_b64 s[0:1], s[8:9], s[6:7]
	v_cndmask_b32_e64 v9, 0, v17, s[0:1]
	s_and_b64 s[0:1], s[94:95], exec
	v_fma_f64 v[7:8], v[9:10], v[7:8], v[9:10]
	v_cmp_class_f64_e64 s[0:1], v[9:10], s33
	s_cselect_b32 s8, s25, 0x3ff00000
	s_xor_b64 s[6:7], s[56:57], s[90:91]
	s_and_b64 s[6:7], s[6:7], exec
	v_cmp_neq_f64_e64 s[6:7], |s[24:25]|, 1.0
	v_mov_b32_e32 v5, s8
	s_cselect_b32 s56, 0, 0x7ff00000
	v_cmp_eq_f64_e64 s[8:9], s[24:25], 0
	v_cndmask_b32_e64 v8, v8, v10, s[0:1]
	v_cndmask_b32_e64 v7, v7, v9, s[0:1]
	v_bfi_b32 v5, s92, v8, v5
	v_cndmask_b32_e32 v8, v6, v5, vcc
	v_cndmask_b32_e32 v9, 0, v7, vcc
	v_cmp_lt_f64_e64 vcc, s[24:25], 0
	s_and_b64 s[0:1], s[6:7], exec
	v_cmp_class_f64_e64 s[0:1], s[24:25], v33
	v_cmp_neq_f64_e64 s[2:3], 0, v[19:20]
	s_cselect_b32 s56, s56, 0x3ff00000
	s_xor_b64 s[6:7], s[10:11], s[8:9]
	v_mov_b32_e32 v10, s56
	v_cmp_gt_f64_e64 s[10:11], 0, v[19:20]
	v_cndmask_b32_e32 v7, v7, v9, vcc
	v_cndmask_b32_e32 v5, v5, v8, vcc
	v_cmp_class_f64_e64 vcc, v[1:2], s33
	s_or_b64 s[0:1], s[8:9], s[0:1]
	s_and_b64 s[6:7], s[6:7], exec
	s_cselect_b32 s8, 0, 0x7ff00000
	s_and_b64 s[6:7], s[94:95], exec
	s_cselect_b32 s6, s25, 0
	v_mov_b32_e32 v8, s8
	v_mov_b32_e32 v9, s6
	v_cndmask_b32_e32 v5, v5, v10, vcc
	v_bfi_b32 v8, s92, v8, v9
	s_or_b64 s[56:57], s[0:1], vcc
	v_cndmask_b32_e64 v5, v5, v8, s[0:1]
	s_and_b64 s[0:1], s[2:3], exec
	s_cselect_b32 s91, s15, 0x3ff00000
	s_cselect_b32 s90, s14, 0
	v_frexp_mant_f64_e64 v[8:9], |s[90:91]|
	v_cmp_gt_f64_e32 vcc, s[28:29], v[8:9]
	v_cndmask_b32_e64 v10, 0, 1, vcc
	v_ldexp_f64 v[8:9], v[8:9], v10
	v_add_f64 v[10:11], v[8:9], 1.0
	v_add_f64 v[16:17], v[8:9], -1.0
	v_rcp_f64_e32 v[12:13], v[10:11]
	v_add_f64 v[23:24], v[10:11], -1.0
	v_add_f64 v[8:9], v[8:9], -v[23:24]
	v_fma_f64 v[14:15], -v[10:11], v[12:13], 1.0
	v_fma_f64 v[12:13], v[14:15], v[12:13], v[12:13]
	v_fma_f64 v[14:15], -v[10:11], v[12:13], 1.0
	v_fma_f64 v[12:13], v[14:15], v[12:13], v[12:13]
	v_mul_f64 v[14:15], v[16:17], v[12:13]
	v_mul_f64 v[26:27], v[10:11], v[14:15]
	v_fma_f64 v[10:11], v[14:15], v[10:11], -v[26:27]
	v_fma_f64 v[8:9], v[14:15], v[8:9], v[10:11]
	v_add_f64 v[10:11], v[26:27], v[8:9]
	v_add_f64 v[23:24], v[16:17], -v[10:11]
	v_add_f64 v[26:27], v[10:11], -v[26:27]
	;; [unrolled: 1-line block ×5, first 2 shown]
	v_add_f64 v[8:9], v[8:9], v[10:11]
	v_add_f64 v[8:9], v[23:24], v[8:9]
	v_mul_f64 v[8:9], v[12:13], v[8:9]
	v_add_f64 v[10:11], v[14:15], v[8:9]
	v_add_f64 v[12:13], v[10:11], -v[14:15]
	v_mul_f64 v[14:15], v[10:11], v[10:11]
	v_add_f64 v[8:9], v[8:9], -v[12:13]
	v_fma_f64 v[12:13], v[10:11], v[10:11], -v[14:15]
	v_add_f64 v[16:17], v[8:9], v[8:9]
	v_fma_f64 v[12:13], v[10:11], v[16:17], v[12:13]
	v_add_f64 v[16:17], v[14:15], v[12:13]
	v_fma_f64 v[3:4], v[16:17], s[34:35], v[3:4]
	v_add_f64 v[14:15], v[16:17], -v[14:15]
	v_mul_f64 v[28:29], v[10:11], v[16:17]
	v_fma_f64 v[3:4], v[16:17], v[3:4], s[36:37]
	v_add_f64 v[12:13], v[12:13], -v[14:15]
	v_cmp_lt_f64_e64 s[36:37], |s[90:91]|, 1.0
	v_fma_f64 v[3:4], v[16:17], v[3:4], s[38:39]
	v_cmp_neq_f64_e64 s[38:39], |s[90:91]|, 1.0
	v_fma_f64 v[3:4], v[16:17], v[3:4], s[40:41]
	v_fma_f64 v[3:4], v[16:17], v[3:4], s[42:43]
	;; [unrolled: 1-line block ×5, first 2 shown]
	v_mul_f64 v[23:24], v[16:17], v[3:4]
	v_fma_f64 v[14:15], v[16:17], v[3:4], -v[23:24]
	v_fma_f64 v[3:4], v[12:13], v[3:4], v[14:15]
	v_add_f64 v[14:15], v[23:24], v[3:4]
	v_add_f64 v[26:27], v[14:15], s[28:29]
	v_add_f64 v[23:24], v[14:15], -v[23:24]
	v_cmp_neq_f64_e64 s[28:29], v[19:20], |v[19:20]|
	v_add_f64 v[30:31], v[26:27], s[50:51]
	v_add_f64 v[3:4], v[3:4], -v[23:24]
	v_fma_f64 v[23:24], v[16:17], v[10:11], -v[28:29]
	v_add_f64 v[14:15], v[14:15], -v[30:31]
	v_add_f64 v[3:4], v[3:4], s[54:55]
	v_fma_f64 v[16:17], v[16:17], v[8:9], v[23:24]
	v_ldexp_f64 v[8:9], v[8:9], 1
	v_add_f64 v[3:4], v[3:4], v[14:15]
	v_fma_f64 v[12:13], v[12:13], v[10:11], v[16:17]
	v_ldexp_f64 v[10:11], v[10:11], 1
	v_add_f64 v[14:15], v[26:27], v[3:4]
	v_add_f64 v[16:17], v[28:29], v[12:13]
	v_add_f64 v[23:24], v[26:27], -v[14:15]
	v_mul_f64 v[26:27], v[16:17], v[14:15]
	v_add_f64 v[28:29], v[16:17], -v[28:29]
	v_add_f64 v[3:4], v[3:4], v[23:24]
	v_fma_f64 v[23:24], v[16:17], v[14:15], -v[26:27]
	v_add_f64 v[12:13], v[12:13], -v[28:29]
	v_fma_f64 v[3:4], v[16:17], v[3:4], v[23:24]
	v_fma_f64 v[3:4], v[12:13], v[14:15], v[3:4]
	v_frexp_exp_i32_f64_e32 v14, s[90:91]
	v_add_f64 v[12:13], v[26:27], v[3:4]
	v_subbrev_co_u32_e32 v18, vcc, 0, v14, vcc
	v_cvt_f64_i32_e32 v[23:24], v18
	v_add_f64 v[14:15], v[10:11], v[12:13]
	v_add_f64 v[16:17], v[12:13], -v[26:27]
	v_mul_f64 v[26:27], v[23:24], s[52:53]
	v_add_f64 v[10:11], v[14:15], -v[10:11]
	v_add_f64 v[3:4], v[3:4], -v[16:17]
	v_fma_f64 v[16:17], v[23:24], s[52:53], -v[26:27]
	v_add_f64 v[10:11], v[12:13], -v[10:11]
	v_add_f64 v[3:4], v[8:9], v[3:4]
	v_fma_f64 v[8:9], v[23:24], s[58:59], v[16:17]
	v_add_f64 v[3:4], v[3:4], v[10:11]
	v_add_f64 v[10:11], v[26:27], v[8:9]
	;; [unrolled: 1-line block ×3, first 2 shown]
	v_add_f64 v[26:27], v[10:11], -v[26:27]
	v_add_f64 v[16:17], v[10:11], v[12:13]
	v_add_f64 v[14:15], v[12:13], -v[14:15]
	v_add_f64 v[8:9], v[8:9], -v[26:27]
	;; [unrolled: 1-line block ×6, first 2 shown]
	v_add_f64 v[14:15], v[8:9], v[3:4]
	v_add_f64 v[10:11], v[10:11], -v[28:29]
	v_add_f64 v[10:11], v[12:13], v[10:11]
	v_add_f64 v[12:13], v[14:15], -v[8:9]
	;; [unrolled: 2-line block ×3, first 2 shown]
	v_add_f64 v[3:4], v[3:4], -v[12:13]
	v_add_f64 v[23:24], v[16:17], v[10:11]
	v_add_f64 v[8:9], v[8:9], -v[14:15]
	v_add_f64 v[12:13], v[23:24], -v[16:17]
	v_add_f64 v[3:4], v[3:4], v[8:9]
	v_add_f64 v[8:9], v[10:11], -v[12:13]
	v_add_f64 v[3:4], v[3:4], v[8:9]
	v_add_f64 v[8:9], v[23:24], v[3:4]
	v_add_f64 v[10:11], v[8:9], -v[23:24]
	v_mul_f64 v[12:13], v[19:20], v[8:9]
	v_mul_f64 v[23:24], v[19:20], 0.5
	v_add_f64 v[3:4], v[3:4], -v[10:11]
	v_fma_f64 v[8:9], v[19:20], v[8:9], -v[12:13]
	v_cmp_class_f64_e64 vcc, v[12:13], s33
	v_trunc_f64_e32 v[26:27], v[23:24]
	v_fma_f64 v[3:4], v[19:20], v[3:4], v[8:9]
	v_cmp_neq_f64_e64 s[0:1], v[26:27], v[23:24]
	v_add_f64 v[8:9], v[12:13], v[3:4]
	v_cndmask_b32_e32 v11, v9, v13, vcc
	v_cndmask_b32_e32 v10, v8, v12, vcc
	v_mul_f64 v[14:15], v[10:11], s[60:61]
	v_add_f64 v[8:9], v[8:9], -v[12:13]
	v_cmp_nlt_f64_e64 s[6:7], s[82:83], v[10:11]
	v_cmp_ngt_f64_e64 s[8:9], s[80:81], v[10:11]
	v_cmp_neq_f64_e64 s[2:3], |v[10:11]|, s[76:77]
	v_rndne_f64_e32 v[14:15], v[14:15]
	v_add_f64 v[3:4], v[3:4], -v[8:9]
	v_fma_f64 v[16:17], v[14:15], s[62:63], v[10:11]
	v_cndmask_b32_e64 v4, 0, v4, s[2:3]
	v_cndmask_b32_e64 v3, 0, v3, s[2:3]
	v_cmp_class_f64_e64 s[2:3], s[90:91], v33
	v_fma_f64 v[16:17], v[14:15], s[64:65], v[16:17]
	v_cvt_i32_f64_e32 v14, v[14:15]
	v_fma_f64 v[21:22], v[16:17], s[66:67], v[21:22]
	v_fma_f64 v[21:22], v[16:17], v[21:22], s[68:69]
	;; [unrolled: 1-line block ×9, first 2 shown]
	v_fma_f64 v[21:22], v[16:17], v[21:22], 1.0
	v_fma_f64 v[16:17], v[16:17], v[21:22], 1.0
	v_trunc_f64_e32 v[21:22], v[19:20]
	v_ldexp_f64 v[12:13], v[16:17], v14
	v_cmp_eq_f64_e32 vcc, v[21:22], v[19:20]
	v_mov_b32_e32 v17, 0x260
	v_cndmask_b32_e64 v8, v32, v13, s[6:7]
	s_and_b64 s[34:35], vcc, s[0:1]
	s_and_b64 s[0:1], s[8:9], s[6:7]
	v_cndmask_b32_e64 v9, 0, v8, s[8:9]
	v_cndmask_b32_e64 v8, 0, v12, s[0:1]
	v_fma_f64 v[3:4], v[8:9], v[3:4], v[8:9]
	v_cmp_class_f64_e64 s[0:1], v[8:9], s33
	s_and_b64 s[8:9], s[34:35], exec
	s_cselect_b32 s40, s91, 0x3ff00000
	v_mov_b32_e32 v10, s40
	v_cmp_eq_f64_e64 s[6:7], s[90:91], 0
	s_xor_b64 s[8:9], s[28:29], s[36:37]
	v_cndmask_b32_e64 v4, v4, v9, s[0:1]
	v_cndmask_b32_e64 v3, v3, v8, s[0:1]
	v_bfi_b32 v4, s92, v4, v10
	v_cndmask_b32_e32 v8, v6, v4, vcc
	v_cndmask_b32_e32 v9, 0, v3, vcc
	v_cmp_lt_f64_e64 vcc, s[90:91], 0
	s_and_b64 s[0:1], s[8:9], exec
	s_cselect_b32 s8, 0, 0x7ff00000
	s_and_b64 s[0:1], s[38:39], exec
	s_cselect_b32 s0, s8, 0x3ff00000
	s_xor_b64 s[8:9], s[10:11], s[6:7]
	v_mov_b32_e32 v10, s0
	s_or_b64 s[0:1], s[6:7], s[2:3]
	v_cndmask_b32_e32 v3, v3, v9, vcc
	v_cndmask_b32_e32 v4, v4, v8, vcc
	v_cmp_class_f64_e64 vcc, v[19:20], s33
	s_and_b64 s[2:3], s[8:9], exec
	s_cselect_b32 s6, 0, 0x7ff00000
	s_and_b64 s[2:3], s[34:35], exec
	s_cselect_b32 s2, s91, 0
	v_mov_b32_e32 v8, s6
	v_mov_b32_e32 v9, s2
	v_bfi_b32 v8, s92, v8, v9
	v_cndmask_b32_e32 v4, v4, v10, vcc
	v_cndmask_b32_e64 v4, v4, v8, s[0:1]
	s_or_b64 s[0:1], s[0:1], vcc
	v_cndmask_b32_e64 v3, v3, 0, s[0:1]
	v_add_f64 v[3:4], -v[3:4], 1.0
	v_cmp_o_f64_e32 vcc, s[90:91], v[19:20]
	s_mov_b32 s0, 0
	s_brev_b32 s1, 8
	s_load_dwordx2 s[38:39], s[4:5], s27 offset:0x0
	s_load_dwordx2 s[36:37], s[4:5], s27 offset:0x120
	;; [unrolled: 1-line block ×4, first 2 shown]
	v_cndmask_b32_e32 v4, v6, v4, vcc
	v_cndmask_b32_e32 v3, 0, v3, vcc
	v_cmp_gt_f64_e32 vcc, s[0:1], v[3:4]
	s_and_b64 s[0:1], vcc, exec
	s_cselect_b32 s0, 0x100, 0
	v_ldexp_f64 v[11:12], v[3:4], s0
	v_cmp_o_f64_e32 vcc, s[24:25], v[1:2]
	s_cselect_b32 s40, 0xffffff80, 0
	s_ashr_i32 s27, s26, 31
	s_lshl_b64 s[6:7], s[26:27], 16
	s_sub_u32 s28, s30, s6
	s_subb_u32 s29, s31, s7
	s_lshl_b64 s[24:25], s[26:27], 18
	v_rsq_f64_e32 v[3:4], v[11:12]
	s_waitcnt lgkmcnt(0)
	s_add_u32 s33, s38, s24
	s_addc_u32 s46, s39, s25
	s_add_u32 s47, s36, s24
	s_addc_u32 s48, s37, s25
	s_lshl_b64 s[26:27], s[26:27], 17
	s_add_u32 s49, s34, s26
	s_addc_u32 s50, s35, s27
	s_add_u32 s51, s10, s26
	s_addc_u32 s52, s11, s27
	s_or_b32 s0, s33, s47
	s_and_b32 s0, s0, 15
	s_cmp_lg_u32 s0, 0
	s_mov_b32 s1, 0
	s_cselect_b64 s[6:7], -1, 0
	s_and_b32 s0, s49, 7
	v_mul_f64 v[8:9], v[11:12], v[3:4]
	v_mul_f64 v[13:14], v[3:4], 0.5
	v_cndmask_b32_e64 v4, v7, 0, s[56:57]
	v_add_f64 v[3:4], -v[4:5], 1.0
	s_cmp_lg_u64 s[0:1], 0
	s_mov_b32 s3, s1
	s_cselect_b64 s[8:9], -1, 0
	s_and_b32 s0, s51, 7
	s_and_b32 s2, s30, 3
	v_fma_f64 v[15:16], -v[13:14], v[8:9], 0.5
	s_or_b64 s[2:3], s[0:1], s[2:3]
	v_cndmask_b32_e32 v10, v6, v4, vcc
	v_cmp_class_f64_e64 s[0:1], v[11:12], v17
	s_or_b64 s[6:7], s[6:7], s[8:9]
	s_cmp_lg_u64 s[2:3], 0
	s_cselect_b64 s[2:3], -1, 0
	s_or_b64 s[2:3], s[6:7], s[2:3]
	v_fma_f64 v[7:8], v[8:9], v[15:16], v[8:9]
	v_fma_f64 v[1:2], v[13:14], v[15:16], v[13:14]
	v_cndmask_b32_e32 v9, 0, v3, vcc
	s_andn2_b64 vcc, exec, s[2:3]
	v_fma_f64 v[13:14], -v[7:8], v[7:8], v[11:12]
	v_fma_f64 v[3:4], v[13:14], v[1:2], v[7:8]
	v_fma_f64 v[5:6], -v[3:4], v[3:4], v[11:12]
	v_fma_f64 v[1:2], v[5:6], v[1:2], v[3:4]
	v_ldexp_f64 v[1:2], v[1:2], s40
	v_cndmask_b32_e64 v12, v2, v12, s[0:1]
	v_cndmask_b32_e64 v11, v1, v11, s[0:1]
	s_mov_b64 s[0:1], -1
	s_cbranch_vccz .LBB0_22
; %bb.7:
	v_mov_b32_e32 v1, 0x10000
	v_mov_b32_e32 v2, 0
	v_cmp_lt_i64_e32 vcc, s[28:29], v[1:2]
	v_mov_b32_e32 v14, 0
	s_and_b64 s[0:1], vcc, exec
	s_cselect_b32 s31, s29, 0
	s_cselect_b32 s30, s28, 0x10000
	v_lshlrev_b32_e32 v13, 2, v0
	v_cmp_gt_i64_e32 vcc, s[30:31], v[13:14]
	s_and_saveexec_b64 s[40:41], vcc
	s_cbranch_execz .LBB0_21
; %bb.8:
	v_cvt_f32_f64_e32 v2, v[9:10]
	s_load_dword s2, s[4:5], 0xd64
	v_cvt_f32_f64_e32 v5, s[20:21]
	v_cvt_f32_f64_e32 v26, s[22:23]
	v_div_scale_f32 v3, s[0:1], v2, v2, v25
	v_div_scale_f32 v4, vcc, v25, v2, v25
	v_cvt_f32_f64_e32 v27, v[11:12]
	v_cvt_f32_f64_e32 v28, s[12:13]
	v_cvt_f32_f64_e32 v29, s[14:15]
	v_mov_b32_e32 v1, v14
	s_cmp_lg_u64 s[16:17], 0
	v_mov_b32_e32 v22, v14
	s_cselect_b64 s[44:45], -1, 0
	s_waitcnt lgkmcnt(0)
	s_and_b32 s55, s2, 0xffff
	v_mov_b32_e32 v16, v1
	s_mov_b64 s[42:43], 0
	v_lshl_or_b32 v30, v0, 3, s26
	v_mov_b32_e32 v31, s27
	v_rcp_f32_e32 v6, v3
	v_lshlrev_b32_e32 v32, 4, v0
	s_mov_b32 s53, 0xf800000
	v_mov_b32_e32 v33, 0x260
	v_fma_f32 v7, -v3, v6, 1.0
	v_fmac_f32_e32 v6, v7, v6
	v_mul_f32_e32 v7, v4, v6
	v_fma_f32 v8, -v3, v7, v4
	v_fmac_f32_e32 v7, v8, v6
	v_fma_f32 v3, -v3, v7, v4
	v_div_fmas_f32 v3, v3, v6, v7
	s_movk_i32 s54, 0x7fff
	v_mov_b32_e32 v34, 0x7fc00000
	v_mov_b32_e32 v35, 0x7fc0
	;; [unrolled: 1-line block ×3, first 2 shown]
	v_cmp_neq_f32_e64 s[0:1], 0, v5
	v_mul_f32_e32 v13, v25, v5
	s_lshl_b32 s56, s55, 3
	s_lshl_b32 s57, s55, 4
	v_mov_b32_e32 v15, v0
	v_div_fixup_f32 v36, v3, v2, v25
	s_branch .LBB0_10
.LBB0_9:                                ;   in Loop: Header=BB0_10 Depth=1
	v_add_co_u32_e32 v15, vcc, s55, v15
	v_addc_co_u32_e32 v16, vcc, 0, v16, vcc
	v_lshlrev_b64 v[21:22], 2, v[15:16]
	s_add_u32 s33, s33, s57
	s_addc_u32 s46, s46, 0
	s_add_u32 s47, s47, s57
	v_cmp_le_i64_e32 vcc, s[30:31], v[21:22]
	s_addc_u32 s48, s48, 0
	s_or_b64 s[42:43], vcc, s[42:43]
	v_add_co_u32_e32 v30, vcc, s56, v30
	v_addc_co_u32_e32 v31, vcc, 0, v31, vcc
	s_andn2_b64 exec, exec, s[42:43]
	s_cbranch_execz .LBB0_21
.LBB0_10:                               ; =>This Inner Loop Header: Depth=1
	v_mov_b32_e32 v1, s46
	v_add_co_u32_e32 v19, vcc, s33, v32
	v_addc_co_u32_e32 v20, vcc, 0, v1, vcc
	v_mov_b32_e32 v1, s48
	v_add_co_u32_e32 v17, vcc, s47, v32
	v_lshlrev_b64 v[23:24], 1, v[21:22]
	v_addc_co_u32_e32 v18, vcc, 0, v1, vcc
	v_mov_b32_e32 v22, s50
	v_add_co_u32_e32 v21, vcc, s49, v23
	v_addc_co_u32_e32 v22, vcc, v22, v24, vcc
	v_mov_b32_e32 v37, s52
	v_add_co_u32_e32 v23, vcc, s51, v23
	v_addc_co_u32_e32 v24, vcc, v37, v24, vcc
	global_load_dwordx4 v[5:8], v[19:20], off
	global_load_dwordx4 v[1:4], v[17:18], off
	v_cndmask_b32_e64 v37, 0, 1, s[44:45]
	global_load_dwordx2 v[21:22], v[21:22], off
	v_cmp_ne_u32_e64 s[2:3], 1, v37
	global_load_dwordx2 v[23:24], v[23:24], off
	s_andn2_b64 vcc, exec, s[44:45]
	s_cbranch_vccnz .LBB0_12
; %bb.11:                               ;   in Loop: Header=BB0_10 Depth=1
	global_load_dword v37, v14, s[16:17]
	s_waitcnt vmcnt(0)
	v_div_scale_f32 v38, s[6:7], v37, v37, v1
	v_div_scale_f32 v39, vcc, v1, v37, v1
	v_rcp_f32_e32 v40, v38
	v_fma_f32 v41, -v38, v40, 1.0
	v_fmac_f32_e32 v40, v41, v40
	v_mul_f32_e32 v41, v39, v40
	v_fma_f32 v42, -v38, v41, v39
	v_fmac_f32_e32 v41, v42, v40
	v_fma_f32 v38, -v38, v41, v39
	v_div_fmas_f32 v38, v38, v40, v41
	v_div_fixup_f32 v1, v38, v37, v1
.LBB0_12:                               ;   in Loop: Header=BB0_10 Depth=1
	s_and_b64 vcc, exec, s[2:3]
	s_cbranch_vccnz .LBB0_14
; %bb.13:                               ;   in Loop: Header=BB0_10 Depth=1
	global_load_dword v37, v14, s[16:17]
	s_waitcnt vmcnt(0)
	v_div_scale_f32 v38, s[6:7], v37, v37, v2
	v_div_scale_f32 v39, vcc, v2, v37, v2
	v_rcp_f32_e32 v40, v38
	v_fma_f32 v41, -v38, v40, 1.0
	v_fmac_f32_e32 v40, v41, v40
	v_mul_f32_e32 v41, v39, v40
	v_fma_f32 v42, -v38, v41, v39
	v_fmac_f32_e32 v41, v42, v40
	v_fma_f32 v38, -v38, v41, v39
	v_div_fmas_f32 v38, v38, v40, v41
	v_div_fixup_f32 v2, v38, v37, v2
.LBB0_14:                               ;   in Loop: Header=BB0_10 Depth=1
	s_and_b64 vcc, exec, s[2:3]
	;; [unrolled: 17-line block ×3, first 2 shown]
	s_cbranch_vccnz .LBB0_18
; %bb.17:                               ;   in Loop: Header=BB0_10 Depth=1
	global_load_dword v37, v14, s[16:17]
	s_waitcnt vmcnt(0)
	v_div_scale_f32 v38, s[6:7], v37, v37, v4
	v_div_scale_f32 v39, vcc, v4, v37, v4
	v_rcp_f32_e32 v40, v38
	v_fma_f32 v41, -v38, v40, 1.0
	v_fmac_f32_e32 v40, v41, v40
	v_mul_f32_e32 v41, v39, v40
	v_fma_f32 v42, -v38, v41, v39
	v_fmac_f32_e32 v41, v42, v40
	v_fma_f32 v38, -v38, v41, v39
	v_div_fmas_f32 v38, v38, v40, v41
	v_div_fixup_f32 v4, v38, v37, v4
.LBB0_18:                               ;   in Loop: Header=BB0_10 Depth=1
	s_waitcnt vmcnt(2)
	v_cndmask_b32_e64 v39, v3, -v3, s[18:19]
	v_mul_f32_e32 v37, v39, v39
	s_waitcnt vmcnt(0)
	v_lshlrev_b32_e32 v38, 16, v24
	v_fma_f32 v37, -v29, v37, v37
	v_fmac_f32_e32 v37, v29, v38
	v_mul_f32_e32 v38, 0x4f800000, v37
	v_cmp_gt_f32_e32 vcc, s53, v37
	v_cndmask_b32_e32 v38, v37, v38, vcc
	v_sqrt_f32_e32 v40, v38
	v_cndmask_b32_e64 v45, v2, -v2, s[18:19]
	v_and_b32_e32 v44, 0xffff0000, v23
	v_lshlrev_b32_e32 v43, 16, v22
	v_add_u32_e32 v41, -1, v40
	v_fma_f32 v42, -v41, v40, v38
	v_cmp_ge_f32_e64 s[6:7], 0, v42
	v_add_u32_e32 v42, 1, v40
	v_cndmask_b32_e64 v41, v40, v41, s[6:7]
	v_fma_f32 v40, -v42, v40, v38
	v_cmp_lt_f32_e64 s[6:7], 0, v40
	v_cndmask_b32_e64 v40, v41, v42, s[6:7]
	v_mul_f32_e32 v41, 0x37800000, v40
	v_cndmask_b32_e32 v40, v40, v41, vcc
	v_cmp_class_f32_e32 vcc, v38, v33
	v_cndmask_b32_e32 v40, v40, v38, vcc
	v_div_scale_f32 v41, s[6:7], v27, v27, v40
	v_div_scale_f32 v42, vcc, v40, v27, v40
	v_mul_f32_e32 v38, v45, v45
	v_fma_f32 v38, -v29, v38, v38
	v_fmac_f32_e32 v38, v29, v44
	v_mul_f32_e32 v44, 0x4f800000, v38
	v_cmp_gt_f32_e64 s[6:7], s53, v38
	v_cndmask_b32_e64 v44, v38, v44, s[6:7]
	v_sqrt_f32_e32 v47, v44
	v_fma_f32 v39, -v28, v39, v39
	v_fmac_f32_e32 v39, v28, v43
	v_lshlrev_b32_e32 v50, 16, v23
	v_and_b32_e32 v24, 0xffff0000, v24
	v_and_b32_e32 v22, 0xffff0000, v22
	v_rcp_f32_e32 v46, v41
	v_mov_b32_e32 v58, s35
	v_fma_f32 v48, -v41, v46, 1.0
	v_fmac_f32_e32 v46, v48, v46
	v_mul_f32_e32 v48, v42, v46
	v_fma_f32 v49, -v41, v48, v42
	v_fmac_f32_e32 v48, v49, v46
	v_fma_f32 v41, -v41, v48, v42
	v_div_fmas_f32 v41, v41, v46, v48
	v_add_u32_e32 v42, -1, v47
	v_fma_f32 v43, -v42, v47, v44
	v_cmp_ge_f32_e32 vcc, 0, v43
	v_add_u32_e32 v43, 1, v47
	v_fma_f32 v46, -v43, v47, v44
	v_cndmask_b32_e32 v42, v47, v42, vcc
	v_cmp_lt_f32_e32 vcc, 0, v46
	v_cndmask_b32_e32 v42, v42, v43, vcc
	v_mul_f32_e32 v43, 0x37800000, v42
	v_cndmask_b32_e64 v42, v42, v43, s[6:7]
	v_cmp_class_f32_e32 vcc, v44, v33
	v_cndmask_b32_e32 v46, v42, v44, vcc
	v_div_scale_f32 v42, s[6:7], v27, v27, v46
	v_div_scale_f32 v43, s[6:7], v46, v27, v46
	v_div_fixup_f32 v40, v41, v27, v40
	v_add_f32_e32 v40, v40, v26
	v_mul_f32_e32 v41, v36, v39
	v_div_scale_f32 v44, s[8:9], v40, v40, v41
	v_div_scale_f32 v47, vcc, v41, v40, v41
	v_and_b32_e32 v49, 0xffff0000, v21
	v_lshlrev_b32_e32 v21, 16, v21
	v_rcp_f32_e32 v48, v42
	v_fma_f32 v23, -v42, v48, 1.0
	v_fmac_f32_e32 v48, v23, v48
	v_mul_f32_e32 v23, v43, v48
	v_rcp_f32_e32 v51, v44
	v_fma_f32 v52, -v42, v23, v43
	v_fmac_f32_e32 v23, v52, v48
	v_fma_f32 v42, -v42, v23, v43
	v_fma_f32 v43, -v44, v51, 1.0
	v_fmac_f32_e32 v51, v43, v51
	v_mul_f32_e32 v43, v47, v51
	v_fma_f32 v52, -v44, v43, v47
	v_fmac_f32_e32 v43, v52, v51
	v_fma_f32 v44, -v44, v43, v47
	v_div_fmas_f32 v43, v44, v51, v43
	s_mov_b64 vcc, s[6:7]
	v_div_fmas_f32 v47, v42, v48, v23
	v_cndmask_b32_e64 v48, v1, -v1, s[18:19]
	v_mul_f32_e32 v23, v48, v48
	v_fma_f32 v23, -v29, v23, v23
	v_fmac_f32_e32 v23, v29, v50
	v_mul_f32_e32 v42, 0x4f800000, v23
	v_cmp_gt_f32_e32 vcc, s53, v23
	v_cndmask_b32_e32 v50, v23, v42, vcc
	v_sqrt_f32_e32 v51, v50
	v_fma_f32 v42, -v28, v45, v45
	v_fmac_f32_e32 v42, v28, v49
	v_mul_f32_e32 v44, v36, v42
	v_add_u32_e32 v45, -1, v51
	v_fma_f32 v49, -v45, v51, v50
	v_cmp_ge_f32_e64 s[6:7], 0, v49
	v_cndmask_b32_e64 v49, v51, v45, s[6:7]
	v_div_fixup_f32 v45, v47, v27, v46
	v_add_u32_e32 v46, 1, v51
	v_fma_f32 v47, -v46, v51, v50
	v_cmp_lt_f32_e64 s[6:7], 0, v47
	v_add_f32_e32 v45, v45, v26
	v_cndmask_b32_e64 v46, v49, v46, s[6:7]
	v_mul_f32_e32 v47, 0x37800000, v46
	v_div_scale_f32 v49, s[6:7], v45, v45, v44
	v_cndmask_b32_e32 v46, v46, v47, vcc
	v_cmp_class_f32_e32 vcc, v50, v33
	v_cndmask_b32_e32 v46, v46, v50, vcc
	v_div_scale_f32 v47, s[6:7], v27, v27, v46
	v_div_scale_f32 v50, vcc, v44, v45, v44
	v_div_scale_f32 v51, s[6:7], v46, v27, v46
	v_fma_f32 v48, -v28, v48, v48
	v_fmac_f32_e32 v48, v28, v21
	v_div_fixup_f32 v40, v43, v40, v41
	v_rcp_f32_e32 v53, v49
	v_fma_f32 v55, -v49, v53, 1.0
	v_rcp_f32_e32 v52, v47
	v_fmac_f32_e32 v53, v55, v53
	v_mul_f32_e32 v55, v50, v53
	v_fma_f32 v56, -v49, v55, v50
	v_fma_f32 v54, -v47, v52, 1.0
	v_fmac_f32_e32 v55, v56, v53
	v_fmac_f32_e32 v52, v54, v52
	v_fma_f32 v49, -v49, v55, v50
	v_mul_f32_e32 v50, v51, v52
	v_div_fmas_f32 v49, v49, v53, v55
	v_fma_f32 v53, -v47, v50, v51
	v_fmac_f32_e32 v50, v53, v52
	v_fma_f32 v47, -v47, v50, v51
	s_mov_b64 vcc, s[6:7]
	v_div_fmas_f32 v47, v47, v52, v50
	v_cndmask_b32_e64 v50, v4, -v4, s[18:19]
	v_mul_f32_e32 v51, v50, v50
	v_fma_f32 v21, -v29, v51, v51
	v_fmac_f32_e32 v21, v29, v24
	v_cmp_gt_f32_e32 vcc, s53, v21
	v_mul_f32_e32 v51, v36, v48
	v_fma_f32 v50, -v28, v50, v50
	v_fmac_f32_e32 v50, v28, v22
	v_div_fixup_f32 v24, v47, v27, v46
	v_mul_f32_e32 v46, 0x4f800000, v21
	v_cndmask_b32_e32 v46, v21, v46, vcc
	v_sqrt_f32_e32 v47, v46
	v_add_f32_e32 v24, v24, v26
	v_div_scale_f32 v52, s[6:7], v24, v24, v51
	v_add_u32_e32 v54, -1, v47
	v_fma_f32 v55, -v54, v47, v46
	v_cmp_ge_f32_e64 s[8:9], 0, v55
	v_add_u32_e32 v55, 1, v47
	v_cndmask_b32_e64 v54, v47, v54, s[8:9]
	v_fma_f32 v47, -v55, v47, v46
	v_cmp_lt_f32_e64 s[8:9], 0, v47
	v_cndmask_b32_e64 v47, v54, v55, s[8:9]
	v_mul_f32_e32 v54, 0x37800000, v47
	v_div_scale_f32 v53, s[6:7], v51, v24, v51
	v_cndmask_b32_e32 v47, v47, v54, vcc
	v_cmp_class_f32_e32 vcc, v46, v33
	v_cndmask_b32_e32 v46, v47, v46, vcc
	v_div_scale_f32 v47, s[8:9], v27, v27, v46
	v_div_scale_f32 v54, s[8:9], v46, v27, v46
	v_rcp_f32_e32 v55, v52
	s_mov_b64 vcc, s[6:7]
	v_fma_f32 v56, -v52, v55, 1.0
	v_fmac_f32_e32 v55, v56, v55
	v_mul_f32_e32 v56, v53, v55
	v_fma_f32 v57, -v52, v56, v53
	v_fmac_f32_e32 v56, v57, v55
	v_fma_f32 v52, -v52, v56, v53
	v_div_fmas_f32 v52, v52, v55, v56
	v_rcp_f32_e32 v57, v47
	s_mov_b64 vcc, s[8:9]
	v_fma_f32 v56, -v13, v5, v5
	v_cndmask_b32_e64 v5, v5, v56, s[0:1]
	v_fma_f32 v53, -v47, v57, 1.0
	v_fmac_f32_e32 v57, v53, v57
	v_mul_f32_e32 v53, v54, v57
	v_fma_f32 v55, -v47, v53, v54
	v_fmac_f32_e32 v53, v55, v57
	v_fma_f32 v47, -v47, v53, v54
	v_div_fmas_f32 v47, v47, v57, v53
	v_fma_f32 v54, -v13, v7, v7
	v_cndmask_b32_e64 v7, v7, v54, s[0:1]
	v_fma_f32 v57, -v13, v8, v8
	v_cndmask_b32_e64 v8, v8, v57, s[0:1]
	;; [unrolled: 2-line block ×3, first 2 shown]
	v_sub_f32_e32 v7, v7, v40
	v_div_fixup_f32 v40, v49, v45, v44
	v_div_fixup_f32 v24, v52, v24, v51
	v_sub_f32_e32 v6, v6, v40
	v_sub_f32_e32 v5, v5, v24
	v_bfe_u32 v56, v42, 16, 1
	v_bfe_u32 v55, v48, 16, 1
	v_add3_u32 v56, v42, v56, s54
	v_add3_u32 v55, v48, v55, s54
	v_div_fixup_f32 v22, v47, v27, v46
	v_add_f32_e32 v22, v22, v26
	v_mul_f32_e32 v46, v36, v50
	v_div_scale_f32 v47, s[6:7], v22, v22, v46
	v_div_scale_f32 v53, vcc, v46, v22, v46
	v_and_b32_e32 v56, 0xffff0000, v56
	v_lshrrev_b32_e32 v55, 16, v55
	v_rcp_f32_e32 v54, v47
	v_fma_f32 v57, -v47, v54, 1.0
	v_fmac_f32_e32 v54, v57, v54
	v_mul_f32_e32 v57, v53, v54
	v_fma_f32 v59, -v47, v57, v53
	v_fmac_f32_e32 v57, v59, v54
	v_fma_f32 v47, -v47, v57, v53
	v_div_fmas_f32 v47, v47, v54, v57
	v_bfe_u32 v54, v50, 16, 1
	v_bfe_u32 v53, v39, 16, 1
	v_add3_u32 v54, v50, v54, s54
	v_add3_u32 v53, v39, v53, s54
	v_lshrrev_b32_e32 v53, 16, v53
	v_div_fixup_f32 v22, v47, v22, v46
	v_sub_f32_e32 v8, v8, v22
	global_store_dwordx4 v[19:20], v[5:8], off
	s_nop 0
	v_add_co_u32_e32 v5, vcc, s34, v30
	v_addc_co_u32_e32 v6, vcc, v58, v31, vcc
	v_and_b32_e32 v7, 0xffff0000, v54
	v_cmp_o_f32_e32 vcc, v50, v50
	v_cndmask_b32_e32 v7, v34, v7, vcc
	v_cmp_o_f32_e32 vcc, v39, v39
	v_cndmask_b32_e32 v8, v35, v53, vcc
	;; [unrolled: 2-line block ×4, first 2 shown]
	v_or_b32_e32 v19, v19, v20
	v_or3_b32 v8, 0, v8, v7
	v_or3_b32 v7, v19, 0, 0
	global_store_dwordx2 v[5:6], v[7:8], off
	v_bfe_u32 v5, v23, 16, 1
	v_add3_u32 v7, v23, v5, s54
	v_bfe_u32 v5, v38, 16, 1
	v_add3_u32 v5, v38, v5, s54
	v_and_b32_e32 v8, 0xffff0000, v5
	v_bfe_u32 v5, v37, 16, 1
	v_add3_u32 v19, v37, v5, s54
	v_bfe_u32 v5, v21, 16, 1
	v_add3_u32 v20, v21, v5, s54
	v_mov_b32_e32 v6, s11
	v_add_co_u32_e32 v5, vcc, s10, v30
	v_addc_co_u32_e32 v6, vcc, v6, v31, vcc
	v_and_b32_e32 v20, 0xffff0000, v20
	v_cmp_o_f32_e32 vcc, v21, v21
	v_cndmask_b32_e32 v20, v34, v20, vcc
	v_cmp_o_f32_e32 vcc, v37, v37
	v_cndmask_b32_sdwa v19, v35, v19, vcc dst_sel:DWORD dst_unused:UNUSED_PAD src0_sel:DWORD src1_sel:WORD_1
	v_cmp_o_f32_e32 vcc, v38, v38
	v_cndmask_b32_e32 v8, v34, v8, vcc
	v_cmp_o_f32_e32 vcc, v23, v23
	v_cndmask_b32_sdwa v7, v35, v7, vcc dst_sel:DWORD dst_unused:UNUSED_PAD src0_sel:DWORD src1_sel:WORD_1
	v_or_b32_e32 v7, v8, v7
	v_or3_b32 v8, 0, v19, v20
	v_or3_b32 v7, v7, 0, 0
	s_and_b64 vcc, exec, s[2:3]
	global_store_dwordx2 v[5:6], v[7:8], off
	s_cbranch_vccnz .LBB0_9
; %bb.19:                               ;   in Loop: Header=BB0_10 Depth=1
	global_store_dwordx4 v[17:18], v[1:4], off
	s_branch .LBB0_9
.LBB0_20:
                                        ; implicit-def: $sgpr7
	v_mov_b32_e32 v25, s7
	s_branch .LBB0_2
.LBB0_21:
	s_or_b64 exec, exec, s[40:41]
	s_mov_b64 s[0:1], 0
.LBB0_22:
	s_andn2_b64 vcc, exec, s[0:1]
	s_cbranch_vccnz .LBB0_82
; %bb.23:
	v_cmp_lt_i64_e64 s[0:1], s[28:29], 1
	s_and_b64 vcc, exec, s[0:1]
	s_cbranch_vccnz .LBB0_82
; %bb.24:
	v_cvt_f32_f64_e32 v10, v[9:10]
	v_cvt_f32_f64_e32 v3, v[11:12]
	v_lshlrev_b32_e32 v1, 2, v0
	v_mov_b32_e32 v8, 0x10000
	v_div_scale_f32 v6, s[0:1], v10, v10, v25
	v_div_scale_f32 v7, vcc, v25, v10, v25
	s_load_dword s2, s[4:5], 0xd64
	v_mov_b32_e32 v11, s37
	v_mov_b32_e32 v9, 0
	;; [unrolled: 1-line block ×3, first 2 shown]
	v_add_co_u32_e64 v4, s[0:1], s38, v1
	v_cvt_f32_f64_e32 v13, s[20:21]
	v_addc_co_u32_e64 v5, s[0:1], 0, v5, s[0:1]
	v_mov_b32_e32 v2, 0
	v_lshlrev_b32_e32 v26, 1, v0
	v_mov_b32_e32 v27, v2
	v_rcp_f32_e32 v12, v6
	v_mov_b32_e32 v18, s37
	v_mov_b32_e32 v19, s35
	;; [unrolled: 1-line block ×3, first 2 shown]
	v_fma_f32 v14, -v6, v12, 1.0
	v_fmac_f32_e32 v12, v14, v12
	v_mul_f32_e32 v14, v7, v12
	v_fma_f32 v15, -v6, v14, v7
	v_fmac_f32_e32 v14, v15, v12
	v_fma_f32 v6, -v6, v14, v7
	v_div_fmas_f32 v12, v6, v12, v14
	v_add_co_u32_e32 v6, vcc, s36, v1
	v_addc_co_u32_e32 v7, vcc, 0, v11, vcc
	v_cmp_lt_i64_e32 vcc, s[28:29], v[8:9]
	v_mov_b32_e32 v11, s35
	s_and_b64 s[0:1], vcc, exec
	s_cselect_b32 s29, s29, 0
	s_cselect_b32 s28, s28, 0x10000
	s_waitcnt lgkmcnt(0)
	s_and_b32 s4, s2, 0xffff
	v_mad_u64_u32 v[16:17], s[2:3], s4, 12, v[1:2]
	v_cmp_neq_f32_e64 s[0:1], 0, v13
	v_mul_f32_e32 v8, v25, v13
	v_mov_b32_e32 v13, s11
	v_div_fixup_f32 v9, v12, v10, v25
	v_add_co_u32_e32 v10, vcc, s34, v26
	v_addc_co_u32_e32 v11, vcc, 0, v11, vcc
	v_add_co_u32_e32 v12, vcc, s10, v26
	v_addc_co_u32_e32 v13, vcc, 0, v13, vcc
	v_mov_b32_e32 v15, s39
	v_add_co_u32_e32 v14, vcc, s38, v16
	v_mad_u64_u32 v[20:21], s[2:3], s4, 6, v[26:27]
	v_addc_co_u32_e32 v15, vcc, v15, v17, vcc
	v_add_co_u32_e32 v16, vcc, s36, v16
	v_addc_co_u32_e32 v17, vcc, v18, v17, vcc
	v_add_co_u32_e32 v18, vcc, s34, v20
	s_lshl_b32 s5, s4, 1
	v_addc_co_u32_e32 v19, vcc, v19, v21, vcc
	s_cmp_lg_u64 s[16:17], 0
	v_add_co_u32_e32 v20, vcc, s10, v20
	s_cselect_b64 s[30:31], -1, 0
	s_lshl_b32 s41, s4, 3
	v_addc_co_u32_e32 v21, vcc, v22, v21, vcc
	v_add_co_u32_e32 v23, vcc, s41, v1
	v_addc_co_u32_e64 v24, s[2:3], 0, 0, vcc
	v_mov_b32_e32 v22, s39
	v_add_co_u32_e32 v1, vcc, s38, v23
	v_addc_co_u32_e32 v22, vcc, v22, v24, vcc
	v_mov_b32_e32 v25, s37
	v_add_co_u32_e32 v23, vcc, s36, v23
	s_lshl_b32 s33, s4, 2
	v_addc_co_u32_e32 v24, vcc, v25, v24, vcc
	v_add_co_u32_e32 v27, vcc, s33, v26
	v_addc_co_u32_e64 v28, s[2:3], 0, 0, vcc
	v_mov_b32_e32 v26, s35
	v_add_co_u32_e32 v25, vcc, s34, v27
	v_addc_co_u32_e32 v26, vcc, v26, v28, vcc
	v_mov_b32_e32 v29, s11
	v_add_co_u32_e32 v27, vcc, s10, v27
	v_addc_co_u32_e32 v28, vcc, v29, v28, vcc
	v_add_co_u32_e32 v29, vcc, s4, v0
	v_lshlrev_b32_e32 v33, 2, v29
	v_addc_co_u32_e64 v30, s[2:3], 0, 0, vcc
	v_mov_b32_e32 v32, s39
	v_add_co_u32_e32 v31, vcc, s38, v33
	v_addc_co_u32_e32 v32, vcc, 0, v32, vcc
	v_mov_b32_e32 v34, s37
	v_add_co_u32_e32 v33, vcc, s36, v33
	v_addc_co_u32_e32 v34, vcc, 0, v34, vcc
	v_lshlrev_b32_e32 v37, 1, v29
	v_mov_b32_e32 v36, s35
	v_add_co_u32_e32 v35, vcc, s34, v37
	v_addc_co_u32_e32 v36, vcc, 0, v36, vcc
	v_mov_b32_e32 v38, s11
	v_add_co_u32_e32 v37, vcc, s10, v37
	s_mul_i32 s6, s4, 3
	v_addc_co_u32_e32 v38, vcc, 0, v38, vcc
	v_cvt_f32_f64_e32 v39, s[12:13]
	v_cvt_f32_f64_e32 v40, s[14:15]
	;; [unrolled: 1-line block ×3, first 2 shown]
	v_add_co_u32_e32 v42, vcc, s6, v0
	v_addc_co_u32_e64 v43, s[2:3], 0, 0, vcc
	v_add_co_u32_e32 v44, vcc, s5, v0
	s_mov_b64 s[20:21], 0
	s_lshl_b32 s40, s4, 4
	s_mov_b32 s34, 0xf800000
	s_movk_i32 s35, 0x7fff
	v_addc_co_u32_e64 v45, s[2:3], 0, 0, vcc
	v_mov_b32_e32 v46, 0x260
	v_mov_b32_e32 v47, 0x7fc0
	s_branch .LBB0_27
.LBB0_25:                               ;   in Loop: Header=BB0_27 Depth=1
	s_or_b64 exec, exec, s[2:3]
.LBB0_26:                               ;   in Loop: Header=BB0_27 Depth=1
	v_add_co_u32_e32 v4, vcc, s40, v4
	v_addc_co_u32_e32 v5, vcc, 0, v5, vcc
	v_add_co_u32_e32 v6, vcc, s40, v6
	v_addc_co_u32_e32 v7, vcc, 0, v7, vcc
	;; [unrolled: 2-line block ×14, first 2 shown]
	s_add_u32 s20, s20, s33
	v_add_co_u32_e32 v35, vcc, s41, v35
	v_mov_b32_e32 v49, s29
	s_addc_u32 s21, s21, 0
	v_addc_co_u32_e32 v36, vcc, 0, v36, vcc
	v_mov_b32_e32 v48, s28
	v_cmp_ge_i64_e32 vcc, s[20:21], v[48:49]
	v_add_co_u32_e64 v37, s[2:3], s41, v37
	v_addc_co_u32_e64 v38, s[2:3], 0, v38, s[2:3]
	s_cbranch_vccnz .LBB0_82
.LBB0_27:                               ; =>This Inner Loop Header: Depth=1
	v_mov_b32_e32 v49, s21
	v_add_co_u32_e32 v48, vcc, s20, v0
	v_addc_co_u32_e32 v49, vcc, 0, v49, vcc
	v_cmp_gt_i64_e64 s[2:3], s[28:29], v[48:49]
	v_mov_b32_e32 v56, 0
	v_mov_b32_e32 v48, 0
	;; [unrolled: 1-line block ×4, first 2 shown]
	s_and_saveexec_b64 s[4:5], s[2:3]
	s_cbranch_execz .LBB0_29
; %bb.28:                               ;   in Loop: Header=BB0_27 Depth=1
	v_mov_b32_e32 v50, s25
	v_add_co_u32_e32 v48, vcc, s24, v4
	v_addc_co_u32_e32 v49, vcc, v5, v50, vcc
	global_load_dword v56, v[48:49], off
	v_add_co_u32_e32 v49, vcc, s24, v6
	v_addc_co_u32_e32 v50, vcc, v7, v50, vcc
	v_mov_b32_e32 v48, s27
	v_add_co_u32_e32 v51, vcc, s26, v10
	v_addc_co_u32_e32 v52, vcc, v11, v48, vcc
	v_add_co_u32_e32 v53, vcc, s26, v12
	v_addc_co_u32_e32 v54, vcc, v13, v48, vcc
	global_load_ushort v55, v[51:52], off
	global_load_ushort v57, v[53:54], off
	global_load_dword v48, v[49:50], off
	s_waitcnt vmcnt(2)
	v_lshlrev_b32_e32 v55, 16, v55
	s_waitcnt vmcnt(1)
	v_lshlrev_b32_e32 v64, 16, v57
.LBB0_29:                               ;   in Loop: Header=BB0_27 Depth=1
	s_or_b64 exec, exec, s[4:5]
	v_mov_b32_e32 v50, s21
	v_add_co_u32_e32 v49, vcc, s20, v29
	v_addc_co_u32_e32 v50, vcc, v30, v50, vcc
	v_cmp_gt_i64_e64 s[4:5], s[28:29], v[49:50]
	v_mov_b32_e32 v60, 0
	v_mov_b32_e32 v54, 0
	;; [unrolled: 1-line block ×3, first 2 shown]
	s_and_saveexec_b64 s[6:7], s[4:5]
	s_cbranch_execz .LBB0_31
; %bb.30:                               ;   in Loop: Header=BB0_27 Depth=1
	v_mov_b32_e32 v49, s25
	v_add_co_u32_e32 v50, vcc, s24, v33
	v_addc_co_u32_e32 v51, vcc, v34, v49, vcc
	v_add_co_u32_e32 v52, vcc, s24, v31
	v_addc_co_u32_e32 v53, vcc, v32, v49, vcc
	global_load_dword v54, v[52:53], off
	global_load_dword v49, v[50:51], off
.LBB0_31:                               ;   in Loop: Header=BB0_27 Depth=1
	s_or_b64 exec, exec, s[6:7]
	v_mov_b32_e32 v63, 0
	s_and_saveexec_b64 s[6:7], s[4:5]
	s_cbranch_execz .LBB0_33
; %bb.32:                               ;   in Loop: Header=BB0_27 Depth=1
	v_mov_b32_e32 v53, s27
	v_add_co_u32_e32 v50, vcc, s26, v35
	v_addc_co_u32_e32 v51, vcc, v36, v53, vcc
	v_add_co_u32_e32 v52, vcc, s26, v37
	v_addc_co_u32_e32 v53, vcc, v38, v53, vcc
	global_load_ushort v57, v[50:51], off
	global_load_ushort v58, v[52:53], off
	s_waitcnt vmcnt(1)
	v_lshlrev_b32_e32 v60, 16, v57
	s_waitcnt vmcnt(0)
	v_lshlrev_b32_e32 v63, 16, v58
.LBB0_33:                               ;   in Loop: Header=BB0_27 Depth=1
	s_or_b64 exec, exec, s[6:7]
	v_mov_b32_e32 v51, s21
	v_add_co_u32_e32 v50, vcc, s20, v44
	v_addc_co_u32_e32 v51, vcc, v45, v51, vcc
	v_cmp_gt_i64_e64 s[6:7], s[28:29], v[50:51]
	v_mov_b32_e32 v58, 0
	v_mov_b32_e32 v53, 0
	;; [unrolled: 1-line block ×3, first 2 shown]
	s_and_saveexec_b64 s[8:9], s[6:7]
	s_cbranch_execz .LBB0_35
; %bb.34:                               ;   in Loop: Header=BB0_27 Depth=1
	v_mov_b32_e32 v50, s25
	v_add_co_u32_e32 v51, vcc, s24, v23
	v_addc_co_u32_e32 v52, vcc, v24, v50, vcc
	v_add_co_u32_e32 v61, vcc, s24, v1
	v_addc_co_u32_e32 v62, vcc, v22, v50, vcc
	global_load_dword v53, v[61:62], off
	global_load_dword v50, v[51:52], off
.LBB0_35:                               ;   in Loop: Header=BB0_27 Depth=1
	s_or_b64 exec, exec, s[8:9]
	v_mov_b32_e32 v61, 0
	s_and_saveexec_b64 s[8:9], s[6:7]
	s_cbranch_execz .LBB0_37
; %bb.36:                               ;   in Loop: Header=BB0_27 Depth=1
	v_mov_b32_e32 v58, s27
	v_add_co_u32_e32 v51, vcc, s26, v25
	v_addc_co_u32_e32 v52, vcc, v26, v58, vcc
	v_add_co_u32_e32 v57, vcc, s26, v27
	v_addc_co_u32_e32 v58, vcc, v28, v58, vcc
	global_load_ushort v59, v[51:52], off
	global_load_ushort v61, v[57:58], off
	s_waitcnt vmcnt(1)
	v_lshlrev_b32_e32 v58, 16, v59
	s_waitcnt vmcnt(0)
	v_lshlrev_b32_e32 v61, 16, v61
.LBB0_37:                               ;   in Loop: Header=BB0_27 Depth=1
	s_or_b64 exec, exec, s[8:9]
	v_mov_b32_e32 v52, s21
	v_add_co_u32_e32 v51, vcc, s20, v42
	v_addc_co_u32_e32 v52, vcc, v43, v52, vcc
	v_cmp_gt_i64_e64 s[8:9], s[28:29], v[51:52]
	v_mov_b32_e32 v57, 0
	v_mov_b32_e32 v52, 0
	;; [unrolled: 1-line block ×3, first 2 shown]
	s_and_saveexec_b64 s[10:11], s[8:9]
	s_cbranch_execz .LBB0_39
; %bb.38:                               ;   in Loop: Header=BB0_27 Depth=1
	v_mov_b32_e32 v52, s25
	v_add_co_u32_e32 v65, vcc, s24, v16
	v_addc_co_u32_e32 v66, vcc, v17, v52, vcc
	v_add_co_u32_e32 v51, vcc, s24, v14
	v_addc_co_u32_e32 v52, vcc, v15, v52, vcc
	global_load_dword v52, v[51:52], off
	s_nop 0
	global_load_dword v51, v[65:66], off
.LBB0_39:                               ;   in Loop: Header=BB0_27 Depth=1
	s_or_b64 exec, exec, s[10:11]
	v_mov_b32_e32 v59, 0
	s_and_saveexec_b64 s[10:11], s[8:9]
	s_cbranch_execz .LBB0_41
; %bb.40:                               ;   in Loop: Header=BB0_27 Depth=1
	v_mov_b32_e32 v57, s27
	v_add_co_u32_e32 v65, vcc, s26, v18
	v_addc_co_u32_e32 v66, vcc, v19, v57, vcc
	v_add_co_u32_e32 v67, vcc, s26, v20
	v_addc_co_u32_e32 v68, vcc, v21, v57, vcc
	global_load_ushort v57, v[65:66], off
	global_load_ushort v59, v[67:68], off
	s_waitcnt vmcnt(1)
	v_lshlrev_b32_e32 v57, 16, v57
	s_waitcnt vmcnt(0)
	v_lshlrev_b32_e32 v59, 16, v59
.LBB0_41:                               ;   in Loop: Header=BB0_27 Depth=1
	s_or_b64 exec, exec, s[10:11]
	v_cndmask_b32_e64 v62, 0, 1, s[30:31]
	v_cmp_ne_u32_e64 s[10:11], 1, v62
	s_andn2_b64 vcc, exec, s[30:31]
	s_cbranch_vccnz .LBB0_43
; %bb.42:                               ;   in Loop: Header=BB0_27 Depth=1
	global_load_dword v62, v2, s[16:17]
	s_waitcnt vmcnt(0)
	v_div_scale_f32 v65, s[12:13], v62, v62, v48
	v_div_scale_f32 v66, vcc, v48, v62, v48
	v_rcp_f32_e32 v67, v65
	v_fma_f32 v68, -v65, v67, 1.0
	v_fmac_f32_e32 v67, v68, v67
	v_mul_f32_e32 v68, v66, v67
	v_fma_f32 v69, -v65, v68, v66
	v_fmac_f32_e32 v68, v69, v67
	v_fma_f32 v65, -v65, v68, v66
	v_div_fmas_f32 v65, v65, v67, v68
	v_div_fixup_f32 v48, v65, v62, v48
.LBB0_43:                               ;   in Loop: Header=BB0_27 Depth=1
	s_and_b64 vcc, exec, s[10:11]
	s_cbranch_vccnz .LBB0_45
; %bb.44:                               ;   in Loop: Header=BB0_27 Depth=1
	global_load_dword v62, v2, s[16:17]
	s_waitcnt vmcnt(0)
	v_div_scale_f32 v65, s[12:13], v62, v62, v49
	v_div_scale_f32 v66, vcc, v49, v62, v49
	v_rcp_f32_e32 v67, v65
	v_fma_f32 v68, -v65, v67, 1.0
	v_fmac_f32_e32 v67, v68, v67
	v_mul_f32_e32 v68, v66, v67
	v_fma_f32 v69, -v65, v68, v66
	v_fmac_f32_e32 v68, v69, v67
	v_fma_f32 v65, -v65, v68, v66
	v_div_fmas_f32 v65, v65, v67, v68
	v_div_fixup_f32 v49, v65, v62, v49
.LBB0_45:                               ;   in Loop: Header=BB0_27 Depth=1
	s_and_b64 vcc, exec, s[10:11]
	;; [unrolled: 17-line block ×3, first 2 shown]
	s_cbranch_vccnz .LBB0_49
; %bb.48:                               ;   in Loop: Header=BB0_27 Depth=1
	global_load_dword v62, v2, s[16:17]
	s_waitcnt vmcnt(0)
	v_div_scale_f32 v65, s[12:13], v62, v62, v51
	v_div_scale_f32 v66, vcc, v51, v62, v51
	v_rcp_f32_e32 v67, v65
	v_fma_f32 v68, -v65, v67, 1.0
	v_fmac_f32_e32 v67, v68, v67
	v_mul_f32_e32 v68, v66, v67
	v_fma_f32 v69, -v65, v68, v66
	v_fmac_f32_e32 v68, v69, v67
	v_fma_f32 v65, -v65, v68, v66
	v_div_fmas_f32 v65, v65, v67, v68
	v_div_fixup_f32 v51, v65, v62, v51
.LBB0_49:                               ;   in Loop: Header=BB0_27 Depth=1
	s_waitcnt vmcnt(0)
	v_cndmask_b32_e64 v65, v48, -v48, s[18:19]
	v_fma_f32 v62, -v39, v65, v65
	v_fmac_f32_e32 v62, v39, v55
	v_mul_f32_e32 v55, v65, v65
	v_fma_f32 v55, -v40, v55, v55
	v_fmac_f32_e32 v55, v40, v64
	s_and_saveexec_b64 s[14:15], s[2:3]
	s_cbranch_execz .LBB0_51
; %bb.50:                               ;   in Loop: Header=BB0_27 Depth=1
	v_mul_f32_e32 v64, 0x4f800000, v55
	v_cmp_gt_f32_e32 vcc, s34, v55
	v_cndmask_b32_e32 v64, v55, v64, vcc
	v_sqrt_f32_e32 v65, v64
	v_add_u32_e32 v66, -1, v65
	v_fma_f32 v68, -v66, v65, v64
	v_add_u32_e32 v67, 1, v65
	v_cmp_ge_f32_e64 s[12:13], 0, v68
	v_cndmask_b32_e64 v66, v65, v66, s[12:13]
	v_fma_f32 v65, -v67, v65, v64
	v_cmp_lt_f32_e64 s[12:13], 0, v65
	v_cndmask_b32_e64 v65, v66, v67, s[12:13]
	v_mul_f32_e32 v66, 0x37800000, v65
	v_cndmask_b32_e32 v65, v65, v66, vcc
	v_cmp_class_f32_e32 vcc, v64, v46
	v_cndmask_b32_e32 v64, v65, v64, vcc
	v_div_scale_f32 v65, s[12:13], v3, v3, v64
	v_div_scale_f32 v66, vcc, v64, v3, v64
	v_rcp_f32_e32 v67, v65
	v_fma_f32 v68, -v65, v67, 1.0
	v_fmac_f32_e32 v67, v68, v67
	v_mul_f32_e32 v68, v66, v67
	v_fma_f32 v69, -v65, v68, v66
	v_fmac_f32_e32 v68, v69, v67
	v_fma_f32 v65, -v65, v68, v66
	v_div_fmas_f32 v65, v65, v67, v68
	v_mul_f32_e32 v66, v9, v62
	v_div_fixup_f32 v64, v65, v3, v64
	v_add_f32_e32 v64, v64, v41
	v_div_scale_f32 v65, s[12:13], v64, v64, v66
	v_div_scale_f32 v67, vcc, v66, v64, v66
	v_rcp_f32_e32 v68, v65
	v_fma_f32 v69, -v65, v68, 1.0
	v_fmac_f32_e32 v68, v69, v68
	v_mul_f32_e32 v69, v67, v68
	v_fma_f32 v70, -v65, v69, v67
	v_fmac_f32_e32 v69, v70, v68
	v_fma_f32 v65, -v65, v69, v67
	v_div_fmas_f32 v65, v65, v68, v69
	v_fma_f32 v67, -v8, v56, v56
	v_cndmask_b32_e64 v56, v56, v67, s[0:1]
	v_mov_b32_e32 v68, s25
	v_div_fixup_f32 v64, v65, v64, v66
	v_sub_f32_e32 v56, v56, v64
	v_add_co_u32_e32 v64, vcc, s24, v4
	v_addc_co_u32_e32 v65, vcc, v5, v68, vcc
	global_store_dword v[64:65], v56, off
.LBB0_51:                               ;   in Loop: Header=BB0_27 Depth=1
	s_or_b64 exec, exec, s[14:15]
	v_cndmask_b32_e64 v56, v49, -v49, s[18:19]
	v_fma_f32 v64, -v39, v56, v56
	v_mul_f32_e32 v56, v56, v56
	v_fma_f32 v56, -v40, v56, v56
	v_fmac_f32_e32 v64, v39, v60
	v_fmac_f32_e32 v56, v40, v63
	s_and_saveexec_b64 s[14:15], s[4:5]
	s_cbranch_execz .LBB0_53
; %bb.52:                               ;   in Loop: Header=BB0_27 Depth=1
	v_mul_f32_e32 v60, 0x4f800000, v56
	v_cmp_gt_f32_e32 vcc, s34, v56
	v_cndmask_b32_e32 v60, v56, v60, vcc
	v_sqrt_f32_e32 v63, v60
	v_add_u32_e32 v65, -1, v63
	v_fma_f32 v67, -v65, v63, v60
	v_add_u32_e32 v66, 1, v63
	v_cmp_ge_f32_e64 s[12:13], 0, v67
	v_cndmask_b32_e64 v65, v63, v65, s[12:13]
	v_fma_f32 v63, -v66, v63, v60
	v_cmp_lt_f32_e64 s[12:13], 0, v63
	v_cndmask_b32_e64 v63, v65, v66, s[12:13]
	v_mul_f32_e32 v65, 0x37800000, v63
	v_cndmask_b32_e32 v63, v63, v65, vcc
	v_cmp_class_f32_e32 vcc, v60, v46
	v_cndmask_b32_e32 v60, v63, v60, vcc
	v_div_scale_f32 v63, s[12:13], v3, v3, v60
	v_div_scale_f32 v65, vcc, v60, v3, v60
	v_rcp_f32_e32 v66, v63
	v_fma_f32 v67, -v63, v66, 1.0
	v_fmac_f32_e32 v66, v67, v66
	v_mul_f32_e32 v67, v65, v66
	v_fma_f32 v68, -v63, v67, v65
	v_fmac_f32_e32 v67, v68, v66
	v_fma_f32 v63, -v63, v67, v65
	v_div_fmas_f32 v63, v63, v66, v67
	v_mul_f32_e32 v65, v9, v64
	v_div_fixup_f32 v60, v63, v3, v60
	v_add_f32_e32 v60, v60, v41
	v_div_scale_f32 v63, s[12:13], v60, v60, v65
	v_div_scale_f32 v66, vcc, v65, v60, v65
	v_rcp_f32_e32 v67, v63
	v_fma_f32 v68, -v63, v67, 1.0
	v_fmac_f32_e32 v67, v68, v67
	v_mul_f32_e32 v68, v66, v67
	v_fma_f32 v69, -v63, v68, v66
	v_fmac_f32_e32 v68, v69, v67
	v_fma_f32 v63, -v63, v68, v66
	v_div_fmas_f32 v63, v63, v67, v68
	v_fma_f32 v66, -v8, v54, v54
	v_mov_b32_e32 v67, s25
	v_cndmask_b32_e64 v54, v54, v66, s[0:1]
	v_div_fixup_f32 v60, v63, v60, v65
	v_add_co_u32_e32 v65, vcc, s24, v31
	v_sub_f32_e32 v54, v54, v60
	v_addc_co_u32_e32 v66, vcc, v32, v67, vcc
	global_store_dword v[65:66], v54, off
.LBB0_53:                               ;   in Loop: Header=BB0_27 Depth=1
	s_or_b64 exec, exec, s[14:15]
	v_cndmask_b32_e64 v54, v50, -v50, s[18:19]
	v_fma_f32 v60, -v39, v54, v54
	v_mul_f32_e32 v54, v54, v54
	v_fma_f32 v54, -v40, v54, v54
	v_fmac_f32_e32 v60, v39, v58
	v_fmac_f32_e32 v54, v40, v61
	s_and_saveexec_b64 s[14:15], s[6:7]
	s_cbranch_execz .LBB0_55
; %bb.54:                               ;   in Loop: Header=BB0_27 Depth=1
	v_mul_f32_e32 v58, 0x4f800000, v54
	v_cmp_gt_f32_e32 vcc, s34, v54
	v_cndmask_b32_e32 v58, v54, v58, vcc
	v_sqrt_f32_e32 v61, v58
	v_add_u32_e32 v63, -1, v61
	v_fma_f32 v66, -v63, v61, v58
	v_add_u32_e32 v65, 1, v61
	v_cmp_ge_f32_e64 s[12:13], 0, v66
	v_cndmask_b32_e64 v63, v61, v63, s[12:13]
	v_fma_f32 v61, -v65, v61, v58
	v_cmp_lt_f32_e64 s[12:13], 0, v61
	v_cndmask_b32_e64 v61, v63, v65, s[12:13]
	v_mul_f32_e32 v63, 0x37800000, v61
	v_cndmask_b32_e32 v61, v61, v63, vcc
	v_cmp_class_f32_e32 vcc, v58, v46
	v_cndmask_b32_e32 v58, v61, v58, vcc
	v_div_scale_f32 v61, s[12:13], v3, v3, v58
	v_div_scale_f32 v63, vcc, v58, v3, v58
	v_rcp_f32_e32 v65, v61
	v_fma_f32 v66, -v61, v65, 1.0
	v_fmac_f32_e32 v65, v66, v65
	v_mul_f32_e32 v66, v63, v65
	v_fma_f32 v67, -v61, v66, v63
	v_fmac_f32_e32 v66, v67, v65
	v_fma_f32 v61, -v61, v66, v63
	v_div_fmas_f32 v61, v61, v65, v66
	v_mul_f32_e32 v63, v9, v60
	v_div_fixup_f32 v58, v61, v3, v58
	v_add_f32_e32 v58, v58, v41
	v_div_scale_f32 v61, s[12:13], v58, v58, v63
	v_div_scale_f32 v65, vcc, v63, v58, v63
	v_rcp_f32_e32 v66, v61
	v_fma_f32 v67, -v61, v66, 1.0
	v_fmac_f32_e32 v66, v67, v66
	v_mul_f32_e32 v67, v65, v66
	v_fma_f32 v68, -v61, v67, v65
	v_fmac_f32_e32 v67, v68, v66
	v_fma_f32 v61, -v61, v67, v65
	v_div_fmas_f32 v61, v61, v66, v67
	v_fma_f32 v65, -v8, v53, v53
	v_mov_b32_e32 v66, s25
	v_cndmask_b32_e64 v53, v53, v65, s[0:1]
	v_add_co_u32_e32 v65, vcc, s24, v1
	v_addc_co_u32_e32 v66, vcc, v22, v66, vcc
	v_div_fixup_f32 v58, v61, v58, v63
	v_sub_f32_e32 v53, v53, v58
	global_store_dword v[65:66], v53, off
.LBB0_55:                               ;   in Loop: Header=BB0_27 Depth=1
	s_or_b64 exec, exec, s[14:15]
	v_cndmask_b32_e64 v53, v51, -v51, s[18:19]
	v_fma_f32 v58, -v39, v53, v53
	v_mul_f32_e32 v53, v53, v53
	v_fma_f32 v53, -v40, v53, v53
	v_fmac_f32_e32 v58, v39, v57
	v_fmac_f32_e32 v53, v40, v59
	s_and_saveexec_b64 s[14:15], s[8:9]
	s_cbranch_execnz .LBB0_65
; %bb.56:                               ;   in Loop: Header=BB0_27 Depth=1
	s_or_b64 exec, exec, s[14:15]
	s_and_saveexec_b64 s[12:13], s[2:3]
	s_cbranch_execnz .LBB0_66
.LBB0_57:                               ;   in Loop: Header=BB0_27 Depth=1
	s_or_b64 exec, exec, s[12:13]
	s_and_saveexec_b64 s[12:13], s[4:5]
	s_cbranch_execnz .LBB0_67
.LBB0_58:                               ;   in Loop: Header=BB0_27 Depth=1
	s_or_b64 exec, exec, s[12:13]
	s_and_saveexec_b64 s[12:13], s[6:7]
	s_cbranch_execnz .LBB0_68
.LBB0_59:                               ;   in Loop: Header=BB0_27 Depth=1
	s_or_b64 exec, exec, s[12:13]
	s_and_saveexec_b64 s[12:13], s[8:9]
	s_cbranch_execnz .LBB0_69
.LBB0_60:                               ;   in Loop: Header=BB0_27 Depth=1
	s_or_b64 exec, exec, s[12:13]
	s_and_saveexec_b64 s[12:13], s[2:3]
	s_cbranch_execnz .LBB0_70
.LBB0_61:                               ;   in Loop: Header=BB0_27 Depth=1
	s_or_b64 exec, exec, s[12:13]
	s_and_saveexec_b64 s[12:13], s[4:5]
	s_cbranch_execnz .LBB0_71
.LBB0_62:                               ;   in Loop: Header=BB0_27 Depth=1
	s_or_b64 exec, exec, s[12:13]
	s_and_saveexec_b64 s[12:13], s[6:7]
	s_cbranch_execnz .LBB0_72
.LBB0_63:                               ;   in Loop: Header=BB0_27 Depth=1
	s_or_b64 exec, exec, s[12:13]
	s_and_saveexec_b64 s[12:13], s[8:9]
	s_cbranch_execnz .LBB0_73
.LBB0_64:                               ;   in Loop: Header=BB0_27 Depth=1
	s_or_b64 exec, exec, s[12:13]
	s_and_b64 vcc, exec, s[10:11]
	s_cbranch_vccz .LBB0_74
	s_branch .LBB0_26
.LBB0_65:                               ;   in Loop: Header=BB0_27 Depth=1
	v_mul_f32_e32 v57, 0x4f800000, v53
	v_cmp_gt_f32_e32 vcc, s34, v53
	v_cndmask_b32_e32 v57, v53, v57, vcc
	v_sqrt_f32_e32 v59, v57
	v_add_u32_e32 v61, -1, v59
	v_fma_f32 v65, -v61, v59, v57
	v_add_u32_e32 v63, 1, v59
	v_cmp_ge_f32_e64 s[12:13], 0, v65
	v_cndmask_b32_e64 v61, v59, v61, s[12:13]
	v_fma_f32 v59, -v63, v59, v57
	v_cmp_lt_f32_e64 s[12:13], 0, v59
	v_cndmask_b32_e64 v59, v61, v63, s[12:13]
	v_mul_f32_e32 v61, 0x37800000, v59
	v_cndmask_b32_e32 v59, v59, v61, vcc
	v_cmp_class_f32_e32 vcc, v57, v46
	v_cndmask_b32_e32 v57, v59, v57, vcc
	v_div_scale_f32 v59, s[12:13], v3, v3, v57
	v_div_scale_f32 v61, vcc, v57, v3, v57
	v_rcp_f32_e32 v63, v59
	v_fma_f32 v65, -v59, v63, 1.0
	v_fmac_f32_e32 v63, v65, v63
	v_mul_f32_e32 v65, v61, v63
	v_fma_f32 v66, -v59, v65, v61
	v_fmac_f32_e32 v65, v66, v63
	v_fma_f32 v59, -v59, v65, v61
	v_div_fmas_f32 v59, v59, v63, v65
	v_mul_f32_e32 v61, v9, v58
	v_div_fixup_f32 v57, v59, v3, v57
	v_add_f32_e32 v57, v57, v41
	v_div_scale_f32 v59, s[12:13], v57, v57, v61
	v_div_scale_f32 v63, vcc, v61, v57, v61
	v_rcp_f32_e32 v65, v59
	v_fma_f32 v66, -v59, v65, 1.0
	v_fmac_f32_e32 v65, v66, v65
	v_mul_f32_e32 v66, v63, v65
	v_fma_f32 v67, -v59, v66, v63
	v_fmac_f32_e32 v66, v67, v65
	v_fma_f32 v59, -v59, v66, v63
	v_div_fmas_f32 v59, v59, v65, v66
	v_fma_f32 v63, -v8, v52, v52
	v_mov_b32_e32 v66, s25
	v_cndmask_b32_e64 v52, v52, v63, s[0:1]
	v_add_co_u32_e32 v65, vcc, s24, v14
	v_addc_co_u32_e32 v66, vcc, v15, v66, vcc
	v_div_fixup_f32 v57, v59, v57, v61
	v_sub_f32_e32 v52, v52, v57
	global_store_dword v[65:66], v52, off
	s_or_b64 exec, exec, s[14:15]
	s_and_saveexec_b64 s[12:13], s[2:3]
	s_cbranch_execz .LBB0_57
.LBB0_66:                               ;   in Loop: Header=BB0_27 Depth=1
	v_bfe_u32 v52, v62, 16, 1
	v_add3_u32 v52, v62, v52, s35
	v_cmp_o_f32_e32 vcc, v62, v62
	v_cndmask_b32_sdwa v52, v47, v52, vcc dst_sel:DWORD dst_unused:UNUSED_PAD src0_sel:DWORD src1_sel:WORD_1
	v_mov_b32_e32 v57, s27
	v_add_co_u32_e32 v61, vcc, s26, v10
	v_addc_co_u32_e32 v62, vcc, v11, v57, vcc
	global_store_short v[61:62], v52, off
	s_or_b64 exec, exec, s[12:13]
	s_and_saveexec_b64 s[12:13], s[4:5]
	s_cbranch_execz .LBB0_58
.LBB0_67:                               ;   in Loop: Header=BB0_27 Depth=1
	v_bfe_u32 v52, v64, 16, 1
	v_add3_u32 v52, v64, v52, s35
	v_cmp_o_f32_e32 vcc, v64, v64
	v_cndmask_b32_sdwa v52, v47, v52, vcc dst_sel:DWORD dst_unused:UNUSED_PAD src0_sel:DWORD src1_sel:WORD_1
	v_mov_b32_e32 v57, s27
	v_add_co_u32_e32 v61, vcc, s26, v35
	v_addc_co_u32_e32 v62, vcc, v36, v57, vcc
	global_store_short v[61:62], v52, off
	s_or_b64 exec, exec, s[12:13]
	s_and_saveexec_b64 s[12:13], s[6:7]
	s_cbranch_execz .LBB0_59
.LBB0_68:                               ;   in Loop: Header=BB0_27 Depth=1
	v_bfe_u32 v52, v60, 16, 1
	v_add3_u32 v52, v60, v52, s35
	v_cmp_o_f32_e32 vcc, v60, v60
	v_cndmask_b32_sdwa v52, v47, v52, vcc dst_sel:DWORD dst_unused:UNUSED_PAD src0_sel:DWORD src1_sel:WORD_1
	v_mov_b32_e32 v57, s27
	v_add_co_u32_e32 v59, vcc, s26, v25
	v_addc_co_u32_e32 v60, vcc, v26, v57, vcc
	global_store_short v[59:60], v52, off
	s_or_b64 exec, exec, s[12:13]
	s_and_saveexec_b64 s[12:13], s[8:9]
	s_cbranch_execz .LBB0_60
.LBB0_69:                               ;   in Loop: Header=BB0_27 Depth=1
	v_bfe_u32 v52, v58, 16, 1
	v_add3_u32 v52, v58, v52, s35
	v_cmp_o_f32_e32 vcc, v58, v58
	v_cndmask_b32_sdwa v52, v47, v52, vcc dst_sel:DWORD dst_unused:UNUSED_PAD src0_sel:DWORD src1_sel:WORD_1
	v_mov_b32_e32 v58, s27
	v_add_co_u32_e32 v57, vcc, s26, v18
	v_addc_co_u32_e32 v58, vcc, v19, v58, vcc
	global_store_short v[57:58], v52, off
	s_or_b64 exec, exec, s[12:13]
	s_and_saveexec_b64 s[12:13], s[2:3]
	s_cbranch_execz .LBB0_61
.LBB0_70:                               ;   in Loop: Header=BB0_27 Depth=1
	v_bfe_u32 v52, v55, 16, 1
	v_add3_u32 v52, v55, v52, s35
	v_cmp_o_f32_e32 vcc, v55, v55
	v_cndmask_b32_sdwa v52, v47, v52, vcc dst_sel:DWORD dst_unused:UNUSED_PAD src0_sel:DWORD src1_sel:WORD_1
	v_mov_b32_e32 v55, s27
	v_add_co_u32_e32 v57, vcc, s26, v12
	v_addc_co_u32_e32 v58, vcc, v13, v55, vcc
	global_store_short v[57:58], v52, off
	s_or_b64 exec, exec, s[12:13]
	s_and_saveexec_b64 s[12:13], s[4:5]
	s_cbranch_execz .LBB0_62
.LBB0_71:                               ;   in Loop: Header=BB0_27 Depth=1
	v_bfe_u32 v52, v56, 16, 1
	v_add3_u32 v52, v56, v52, s35
	v_cmp_o_f32_e32 vcc, v56, v56
	v_cndmask_b32_sdwa v52, v47, v52, vcc dst_sel:DWORD dst_unused:UNUSED_PAD src0_sel:DWORD src1_sel:WORD_1
	v_mov_b32_e32 v56, s27
	v_add_co_u32_e32 v55, vcc, s26, v37
	v_addc_co_u32_e32 v56, vcc, v38, v56, vcc
	global_store_short v[55:56], v52, off
	s_or_b64 exec, exec, s[12:13]
	s_and_saveexec_b64 s[12:13], s[6:7]
	s_cbranch_execz .LBB0_63
.LBB0_72:                               ;   in Loop: Header=BB0_27 Depth=1
	v_bfe_u32 v52, v54, 16, 1
	v_add3_u32 v52, v54, v52, s35
	v_cmp_o_f32_e32 vcc, v54, v54
	v_cndmask_b32_sdwa v52, v47, v52, vcc dst_sel:DWORD dst_unused:UNUSED_PAD src0_sel:DWORD src1_sel:WORD_1
	v_mov_b32_e32 v55, s27
	v_add_co_u32_e32 v54, vcc, s26, v27
	v_addc_co_u32_e32 v55, vcc, v28, v55, vcc
	global_store_short v[54:55], v52, off
	s_or_b64 exec, exec, s[12:13]
	s_and_saveexec_b64 s[12:13], s[8:9]
	s_cbranch_execz .LBB0_64
.LBB0_73:                               ;   in Loop: Header=BB0_27 Depth=1
	v_bfe_u32 v52, v53, 16, 1
	v_add3_u32 v52, v53, v52, s35
	v_cmp_o_f32_e32 vcc, v53, v53
	v_cndmask_b32_sdwa v54, v47, v52, vcc dst_sel:DWORD dst_unused:UNUSED_PAD src0_sel:DWORD src1_sel:WORD_1
	v_mov_b32_e32 v53, s27
	v_add_co_u32_e32 v52, vcc, s26, v20
	v_addc_co_u32_e32 v53, vcc, v21, v53, vcc
	global_store_short v[52:53], v54, off
	s_or_b64 exec, exec, s[12:13]
	s_and_b64 vcc, exec, s[10:11]
	s_cbranch_vccnz .LBB0_26
.LBB0_74:                               ;   in Loop: Header=BB0_27 Depth=1
	s_and_saveexec_b64 s[10:11], s[2:3]
	s_cbranch_execnz .LBB0_78
; %bb.75:                               ;   in Loop: Header=BB0_27 Depth=1
	s_or_b64 exec, exec, s[10:11]
	s_and_saveexec_b64 s[2:3], s[4:5]
	s_cbranch_execnz .LBB0_79
.LBB0_76:                               ;   in Loop: Header=BB0_27 Depth=1
	s_or_b64 exec, exec, s[2:3]
	s_and_saveexec_b64 s[2:3], s[6:7]
	s_cbranch_execnz .LBB0_80
.LBB0_77:                               ;   in Loop: Header=BB0_27 Depth=1
	s_or_b64 exec, exec, s[2:3]
	s_and_saveexec_b64 s[2:3], s[8:9]
	s_cbranch_execz .LBB0_25
	s_branch .LBB0_81
.LBB0_78:                               ;   in Loop: Header=BB0_27 Depth=1
	v_mov_b32_e32 v53, s25
	v_add_co_u32_e32 v52, vcc, s24, v6
	v_addc_co_u32_e32 v53, vcc, v7, v53, vcc
	global_store_dword v[52:53], v48, off
	s_or_b64 exec, exec, s[10:11]
	s_and_saveexec_b64 s[2:3], s[4:5]
	s_cbranch_execz .LBB0_76
.LBB0_79:                               ;   in Loop: Header=BB0_27 Depth=1
	v_mov_b32_e32 v48, s25
	v_add_co_u32_e32 v52, vcc, s24, v33
	v_addc_co_u32_e32 v53, vcc, v34, v48, vcc
	global_store_dword v[52:53], v49, off
	s_or_b64 exec, exec, s[2:3]
	s_and_saveexec_b64 s[2:3], s[6:7]
	s_cbranch_execz .LBB0_77
.LBB0_80:                               ;   in Loop: Header=BB0_27 Depth=1
	v_mov_b32_e32 v49, s25
	v_add_co_u32_e32 v48, vcc, s24, v23
	v_addc_co_u32_e32 v49, vcc, v24, v49, vcc
	global_store_dword v[48:49], v50, off
	s_or_b64 exec, exec, s[2:3]
	s_and_saveexec_b64 s[2:3], s[8:9]
	s_cbranch_execz .LBB0_25
.LBB0_81:                               ;   in Loop: Header=BB0_27 Depth=1
	v_mov_b32_e32 v49, s25
	v_add_co_u32_e32 v48, vcc, s24, v16
	v_addc_co_u32_e32 v49, vcc, v17, v49, vcc
	global_store_dword v[48:49], v51, off
	s_branch .LBB0_25
.LBB0_82:
	s_endpgm
	.section	.rodata,"a",@progbits
	.p2align	6, 0x0
	.amdhsa_kernel _ZN2at6native12_GLOBAL__N_125multi_tensor_apply_kernelINS1_32FusedOptimizerTensorListMetadataILi4EEENS1_22FusedAdamMathFunctorMPIfffN3c108BFloat16ES7_fLi4ELNS0_9ADAM_MODEE1ELb0EEEJPKfdddddbSB_SB_EEEvT_T0_DpT1_
		.amdhsa_group_segment_fixed_size 0
		.amdhsa_private_segment_fixed_size 0
		.amdhsa_kernarg_size 3672
		.amdhsa_user_sgpr_count 6
		.amdhsa_user_sgpr_private_segment_buffer 1
		.amdhsa_user_sgpr_dispatch_ptr 0
		.amdhsa_user_sgpr_queue_ptr 0
		.amdhsa_user_sgpr_kernarg_segment_ptr 1
		.amdhsa_user_sgpr_dispatch_id 0
		.amdhsa_user_sgpr_flat_scratch_init 0
		.amdhsa_user_sgpr_private_segment_size 0
		.amdhsa_uses_dynamic_stack 0
		.amdhsa_system_sgpr_private_segment_wavefront_offset 0
		.amdhsa_system_sgpr_workgroup_id_x 1
		.amdhsa_system_sgpr_workgroup_id_y 0
		.amdhsa_system_sgpr_workgroup_id_z 0
		.amdhsa_system_sgpr_workgroup_info 0
		.amdhsa_system_vgpr_workitem_id 0
		.amdhsa_next_free_vgpr 71
		.amdhsa_next_free_sgpr 96
		.amdhsa_reserve_vcc 1
		.amdhsa_reserve_flat_scratch 0
		.amdhsa_float_round_mode_32 0
		.amdhsa_float_round_mode_16_64 0
		.amdhsa_float_denorm_mode_32 3
		.amdhsa_float_denorm_mode_16_64 3
		.amdhsa_dx10_clamp 1
		.amdhsa_ieee_mode 1
		.amdhsa_fp16_overflow 0
		.amdhsa_exception_fp_ieee_invalid_op 0
		.amdhsa_exception_fp_denorm_src 0
		.amdhsa_exception_fp_ieee_div_zero 0
		.amdhsa_exception_fp_ieee_overflow 0
		.amdhsa_exception_fp_ieee_underflow 0
		.amdhsa_exception_fp_ieee_inexact 0
		.amdhsa_exception_int_div_zero 0
	.end_amdhsa_kernel
	.section	.text._ZN2at6native12_GLOBAL__N_125multi_tensor_apply_kernelINS1_32FusedOptimizerTensorListMetadataILi4EEENS1_22FusedAdamMathFunctorMPIfffN3c108BFloat16ES7_fLi4ELNS0_9ADAM_MODEE1ELb0EEEJPKfdddddbSB_SB_EEEvT_T0_DpT1_,"axG",@progbits,_ZN2at6native12_GLOBAL__N_125multi_tensor_apply_kernelINS1_32FusedOptimizerTensorListMetadataILi4EEENS1_22FusedAdamMathFunctorMPIfffN3c108BFloat16ES7_fLi4ELNS0_9ADAM_MODEE1ELb0EEEJPKfdddddbSB_SB_EEEvT_T0_DpT1_,comdat
.Lfunc_end0:
	.size	_ZN2at6native12_GLOBAL__N_125multi_tensor_apply_kernelINS1_32FusedOptimizerTensorListMetadataILi4EEENS1_22FusedAdamMathFunctorMPIfffN3c108BFloat16ES7_fLi4ELNS0_9ADAM_MODEE1ELb0EEEJPKfdddddbSB_SB_EEEvT_T0_DpT1_, .Lfunc_end0-_ZN2at6native12_GLOBAL__N_125multi_tensor_apply_kernelINS1_32FusedOptimizerTensorListMetadataILi4EEENS1_22FusedAdamMathFunctorMPIfffN3c108BFloat16ES7_fLi4ELNS0_9ADAM_MODEE1ELb0EEEJPKfdddddbSB_SB_EEEvT_T0_DpT1_
                                        ; -- End function
	.set _ZN2at6native12_GLOBAL__N_125multi_tensor_apply_kernelINS1_32FusedOptimizerTensorListMetadataILi4EEENS1_22FusedAdamMathFunctorMPIfffN3c108BFloat16ES7_fLi4ELNS0_9ADAM_MODEE1ELb0EEEJPKfdddddbSB_SB_EEEvT_T0_DpT1_.num_vgpr, 71
	.set _ZN2at6native12_GLOBAL__N_125multi_tensor_apply_kernelINS1_32FusedOptimizerTensorListMetadataILi4EEENS1_22FusedAdamMathFunctorMPIfffN3c108BFloat16ES7_fLi4ELNS0_9ADAM_MODEE1ELb0EEEJPKfdddddbSB_SB_EEEvT_T0_DpT1_.num_agpr, 0
	.set _ZN2at6native12_GLOBAL__N_125multi_tensor_apply_kernelINS1_32FusedOptimizerTensorListMetadataILi4EEENS1_22FusedAdamMathFunctorMPIfffN3c108BFloat16ES7_fLi4ELNS0_9ADAM_MODEE1ELb0EEEJPKfdddddbSB_SB_EEEvT_T0_DpT1_.numbered_sgpr, 96
	.set _ZN2at6native12_GLOBAL__N_125multi_tensor_apply_kernelINS1_32FusedOptimizerTensorListMetadataILi4EEENS1_22FusedAdamMathFunctorMPIfffN3c108BFloat16ES7_fLi4ELNS0_9ADAM_MODEE1ELb0EEEJPKfdddddbSB_SB_EEEvT_T0_DpT1_.num_named_barrier, 0
	.set _ZN2at6native12_GLOBAL__N_125multi_tensor_apply_kernelINS1_32FusedOptimizerTensorListMetadataILi4EEENS1_22FusedAdamMathFunctorMPIfffN3c108BFloat16ES7_fLi4ELNS0_9ADAM_MODEE1ELb0EEEJPKfdddddbSB_SB_EEEvT_T0_DpT1_.private_seg_size, 0
	.set _ZN2at6native12_GLOBAL__N_125multi_tensor_apply_kernelINS1_32FusedOptimizerTensorListMetadataILi4EEENS1_22FusedAdamMathFunctorMPIfffN3c108BFloat16ES7_fLi4ELNS0_9ADAM_MODEE1ELb0EEEJPKfdddddbSB_SB_EEEvT_T0_DpT1_.uses_vcc, 1
	.set _ZN2at6native12_GLOBAL__N_125multi_tensor_apply_kernelINS1_32FusedOptimizerTensorListMetadataILi4EEENS1_22FusedAdamMathFunctorMPIfffN3c108BFloat16ES7_fLi4ELNS0_9ADAM_MODEE1ELb0EEEJPKfdddddbSB_SB_EEEvT_T0_DpT1_.uses_flat_scratch, 0
	.set _ZN2at6native12_GLOBAL__N_125multi_tensor_apply_kernelINS1_32FusedOptimizerTensorListMetadataILi4EEENS1_22FusedAdamMathFunctorMPIfffN3c108BFloat16ES7_fLi4ELNS0_9ADAM_MODEE1ELb0EEEJPKfdddddbSB_SB_EEEvT_T0_DpT1_.has_dyn_sized_stack, 0
	.set _ZN2at6native12_GLOBAL__N_125multi_tensor_apply_kernelINS1_32FusedOptimizerTensorListMetadataILi4EEENS1_22FusedAdamMathFunctorMPIfffN3c108BFloat16ES7_fLi4ELNS0_9ADAM_MODEE1ELb0EEEJPKfdddddbSB_SB_EEEvT_T0_DpT1_.has_recursion, 0
	.set _ZN2at6native12_GLOBAL__N_125multi_tensor_apply_kernelINS1_32FusedOptimizerTensorListMetadataILi4EEENS1_22FusedAdamMathFunctorMPIfffN3c108BFloat16ES7_fLi4ELNS0_9ADAM_MODEE1ELb0EEEJPKfdddddbSB_SB_EEEvT_T0_DpT1_.has_indirect_call, 0
	.section	.AMDGPU.csdata,"",@progbits
; Kernel info:
; codeLenInByte = 10232
; TotalNumSgprs: 100
; NumVgprs: 71
; ScratchSize: 0
; MemoryBound: 0
; FloatMode: 240
; IeeeMode: 1
; LDSByteSize: 0 bytes/workgroup (compile time only)
; SGPRBlocks: 12
; VGPRBlocks: 17
; NumSGPRsForWavesPerEU: 100
; NumVGPRsForWavesPerEU: 71
; Occupancy: 3
; WaveLimiterHint : 0
; COMPUTE_PGM_RSRC2:SCRATCH_EN: 0
; COMPUTE_PGM_RSRC2:USER_SGPR: 6
; COMPUTE_PGM_RSRC2:TRAP_HANDLER: 0
; COMPUTE_PGM_RSRC2:TGID_X_EN: 1
; COMPUTE_PGM_RSRC2:TGID_Y_EN: 0
; COMPUTE_PGM_RSRC2:TGID_Z_EN: 0
; COMPUTE_PGM_RSRC2:TIDIG_COMP_CNT: 0
	.section	.text._ZN2at6native12_GLOBAL__N_125multi_tensor_apply_kernelINS1_32FusedOptimizerTensorListMetadataILi4EEENS1_20FusedAdamMathFunctorIdLi4ELNS0_9ADAM_MODEE1ELb0EEEJPKfdddddbS9_S9_EEEvT_T0_DpT1_,"axG",@progbits,_ZN2at6native12_GLOBAL__N_125multi_tensor_apply_kernelINS1_32FusedOptimizerTensorListMetadataILi4EEENS1_20FusedAdamMathFunctorIdLi4ELNS0_9ADAM_MODEE1ELb0EEEJPKfdddddbS9_S9_EEEvT_T0_DpT1_,comdat
	.globl	_ZN2at6native12_GLOBAL__N_125multi_tensor_apply_kernelINS1_32FusedOptimizerTensorListMetadataILi4EEENS1_20FusedAdamMathFunctorIdLi4ELNS0_9ADAM_MODEE1ELb0EEEJPKfdddddbS9_S9_EEEvT_T0_DpT1_ ; -- Begin function _ZN2at6native12_GLOBAL__N_125multi_tensor_apply_kernelINS1_32FusedOptimizerTensorListMetadataILi4EEENS1_20FusedAdamMathFunctorIdLi4ELNS0_9ADAM_MODEE1ELb0EEEJPKfdddddbS9_S9_EEEvT_T0_DpT1_
	.p2align	8
	.type	_ZN2at6native12_GLOBAL__N_125multi_tensor_apply_kernelINS1_32FusedOptimizerTensorListMetadataILi4EEENS1_20FusedAdamMathFunctorIdLi4ELNS0_9ADAM_MODEE1ELb0EEEJPKfdddddbS9_S9_EEEvT_T0_DpT1_,@function
_ZN2at6native12_GLOBAL__N_125multi_tensor_apply_kernelINS1_32FusedOptimizerTensorListMetadataILi4EEENS1_20FusedAdamMathFunctorIdLi4ELNS0_9ADAM_MODEE1ELb0EEEJPKfdddddbS9_S9_EEEvT_T0_DpT1_: ; @_ZN2at6native12_GLOBAL__N_125multi_tensor_apply_kernelINS1_32FusedOptimizerTensorListMetadataILi4EEENS1_20FusedAdamMathFunctorIdLi4ELNS0_9ADAM_MODEE1ELb0EEEJPKfdddddbS9_S9_EEEvT_T0_DpT1_
; %bb.0:
	v_mov_b32_e32 v1, s6
	global_load_ubyte v1, v1, s[4:5] offset:1728
	s_load_dwordx8 s[12:19], s[4:5], 0xd10
	s_add_u32 s0, s4, s6
	s_mul_hi_u32 s1, s6, 3
	s_mul_i32 s6, s6, 3
	s_addc_u32 s2, s5, 0
	s_add_u32 s0, s0, s6
	s_addc_u32 s1, s2, s1
	s_waitcnt lgkmcnt(0)
	v_mov_b32_e32 v34, s15
	s_cmp_eq_u64 s[12:13], 0
	v_mov_b32_e32 v33, s14
	s_waitcnt vmcnt(0)
	v_readfirstlane_b32 s6, v1
	s_cbranch_scc1 .LBB1_2
; %bb.1:
	s_load_dword s2, s[12:13], 0x0
	s_waitcnt lgkmcnt(0)
	v_cvt_f64_f32_e32 v[33:34], s2
.LBB1_2:
	s_load_dwordx4 s[20:23], s[4:5], 0xd48
	s_waitcnt lgkmcnt(0)
	s_cmp_eq_u64 s[22:23], 0
	s_cselect_b64 s[2:3], -1, 0
	s_and_b64 vcc, exec, s[2:3]
	s_cbranch_vccnz .LBB1_4
; %bb.3:
	s_load_dword s2, s[22:23], 0x0
	s_waitcnt lgkmcnt(0)
	v_cmp_neq_f32_e64 s[2:3], s2, 1.0
.LBB1_4:
	s_andn2_b64 vcc, exec, s[2:3]
	s_cbranch_vccnz .LBB1_82
; %bb.5:
	s_load_dword s2, s[4:5], 0xd40
	s_load_dword s14, s[0:1], 0x800
	s_load_dwordx4 s[24:27], s[4:5], 0xd30
	v_cmp_neq_f64_e64 vcc, s[16:17], 1.0
	v_mov_b32_e32 v27, 0x3ff00000
	s_waitcnt lgkmcnt(0)
	s_bitcmp1_b32 s2, 0
	s_cselect_b64 s[0:1], -1, 0
	s_and_b32 s2, s6, 0xff
	s_lshl_b32 s15, s2, 3
	s_load_dwordx2 s[2:3], s[4:5], s15 offset:0x5a0
	s_load_dwordx2 s[28:29], s[4:5], s15 offset:0x480
	s_mov_b32 s12, 0x55555555
	s_mov_b32 s13, 0x3fe55555
	;; [unrolled: 1-line block ×3, first 2 shown]
	s_waitcnt lgkmcnt(0)
	s_load_dword s2, s[2:3], 0x0
	s_mov_b32 s31, 0x3fbdee67
	s_mov_b32 s34, 0x3abe935a
	;; [unrolled: 1-line block ×4, first 2 shown]
	s_waitcnt lgkmcnt(0)
	v_cvt_f64_f32_e32 v[7:8], s2
	s_mov_b32 s37, 0x3fc110ef
	s_mov_b32 s38, 0xcfa74449
	;; [unrolled: 1-line block ×3, first 2 shown]
	v_cndmask_b32_e32 v2, v27, v8, vcc
	v_cndmask_b32_e32 v1, 0, v7, vcc
	v_cmp_neq_f64_e32 vcc, 0, v[1:2]
	s_mov_b32 s40, 0x71bf3c30
	s_mov_b32 s41, 0x3fc745d1
	;; [unrolled: 1-line block ×7, first 2 shown]
	s_and_b64 s[2:3], vcc, exec
	s_cselect_b32 s23, s17, 0x3ff00000
	s_cselect_b32 s22, s16, 0
	v_frexp_mant_f64_e64 v[3:4], |s[22:23]|
	s_mov_b32 s2, 0x968915a9
	s_mov_b32 s3, 0x3fba6564
	;; [unrolled: 1-line block ×7, first 2 shown]
	v_cmp_gt_f64_e32 vcc, s[12:13], v[3:4]
	s_mov_b32 s52, 0xfefa39ef
	s_mov_b32 s53, 0x3fe62e42
	s_mov_b32 s56, 0x3b39803f
	s_mov_b32 s57, 0x3c7abc9e
	s_movk_i32 s33, 0x204
	s_mov_b32 s58, 0x652b82fe
	s_mov_b32 s59, 0x3ff71547
	v_cndmask_b32_e64 v5, 0, 1, vcc
	v_ldexp_f64 v[3:4], v[3:4], v5
	s_mov_b32 s61, 0xbfe62e42
	s_mov_b32 s60, s52
	;; [unrolled: 1-line block ×7, first 2 shown]
	v_add_f64 v[5:6], v[3:4], 1.0
	v_add_f64 v[13:14], v[3:4], -1.0
	s_mov_b32 s67, 0x3ec71dee
	s_mov_b32 s68, 0x7c89e6b0
	s_mov_b32 s69, 0x3efa0199
	s_mov_b32 s70, 0x14761f6e
	s_mov_b32 s71, 0x3f2a01a0
	s_mov_b32 s72, 0x1852b7b0
	v_rcp_f64_e32 v[9:10], v[5:6]
	v_add_f64 v[15:16], v[5:6], -1.0
	s_mov_b32 s73, 0x3f56c16c
	s_mov_b32 s74, 0x11122322
	;; [unrolled: 1-line block ×7, first 2 shown]
	v_add_f64 v[3:4], v[3:4], -v[15:16]
	s_mov_b32 s86, 11
	s_mov_b32 s87, 0x3fe00000
	;; [unrolled: 1-line block ×6, first 2 shown]
	v_fma_f64 v[11:12], -v[5:6], v[9:10], 1.0
	s_mov_b32 s77, 0x7ff00000
	v_mov_b32_e32 v31, 0x7ff00000
	s_mov_b32 s83, 0xc090cc00
	v_cmp_neq_f64_e64 s[48:49], v[1:2], |v[1:2]|
	s_brev_b32 s90, -2
	v_mov_b32_e32 v32, 0x204
	v_fma_f64 v[9:10], v[11:12], v[9:10], v[9:10]
	v_fma_f64 v[11:12], -v[5:6], v[9:10], 1.0
	v_fma_f64 v[9:10], v[11:12], v[9:10], v[9:10]
	v_mul_f64 v[11:12], v[13:14], v[9:10]
	v_mul_f64 v[17:18], v[5:6], v[11:12]
	v_fma_f64 v[5:6], v[11:12], v[5:6], -v[17:18]
	v_fma_f64 v[3:4], v[11:12], v[3:4], v[5:6]
	v_add_f64 v[5:6], v[17:18], v[3:4]
	v_add_f64 v[15:16], v[13:14], -v[5:6]
	v_add_f64 v[17:18], v[5:6], -v[17:18]
	;; [unrolled: 1-line block ×5, first 2 shown]
	v_add_f64 v[3:4], v[3:4], v[5:6]
	v_add_f64 v[3:4], v[15:16], v[3:4]
	v_mul_f64 v[3:4], v[9:10], v[3:4]
	v_add_f64 v[5:6], v[11:12], v[3:4]
	v_add_f64 v[9:10], v[5:6], -v[11:12]
	v_mul_f64 v[11:12], v[5:6], v[5:6]
	v_add_f64 v[9:10], v[3:4], -v[9:10]
	v_fma_f64 v[3:4], v[5:6], v[5:6], -v[11:12]
	v_add_f64 v[13:14], v[9:10], v[9:10]
	v_fma_f64 v[13:14], v[5:6], v[13:14], v[3:4]
	v_mov_b32_e32 v4, s3
	v_mov_b32_e32 v3, s2
	s_mov_b32 s2, 0xfca7ab0c
	s_mov_b32 s3, 0x3e928af3
	v_add_f64 v[15:16], v[11:12], v[13:14]
	v_fma_f64 v[17:18], v[15:16], s[30:31], v[3:4]
	v_add_f64 v[11:12], v[15:16], -v[11:12]
	v_mul_f64 v[23:24], v[5:6], v[15:16]
	v_fma_f64 v[17:18], v[15:16], v[17:18], s[34:35]
	v_add_f64 v[11:12], v[13:14], -v[11:12]
	v_fma_f64 v[17:18], v[15:16], v[17:18], s[36:37]
	v_fma_f64 v[17:18], v[15:16], v[17:18], s[38:39]
	;; [unrolled: 1-line block ×6, first 2 shown]
	v_mul_f64 v[19:20], v[15:16], v[17:18]
	v_fma_f64 v[13:14], v[15:16], v[17:18], -v[19:20]
	v_fma_f64 v[13:14], v[11:12], v[17:18], v[13:14]
	v_add_f64 v[17:18], v[19:20], v[13:14]
	v_add_f64 v[21:22], v[17:18], s[12:13]
	v_add_f64 v[19:20], v[17:18], -v[19:20]
	v_add_f64 v[25:26], v[21:22], s[50:51]
	v_add_f64 v[13:14], v[13:14], -v[19:20]
	v_fma_f64 v[19:20], v[15:16], v[5:6], -v[23:24]
	v_add_f64 v[17:18], v[17:18], -v[25:26]
	v_add_f64 v[13:14], v[13:14], s[54:55]
	v_fma_f64 v[15:16], v[15:16], v[9:10], v[19:20]
	v_ldexp_f64 v[9:10], v[9:10], 1
	v_add_f64 v[13:14], v[13:14], v[17:18]
	v_fma_f64 v[11:12], v[11:12], v[5:6], v[15:16]
	v_ldexp_f64 v[5:6], v[5:6], 1
	v_add_f64 v[15:16], v[21:22], v[13:14]
	v_add_f64 v[17:18], v[23:24], v[11:12]
	v_add_f64 v[19:20], v[21:22], -v[15:16]
	v_mul_f64 v[21:22], v[17:18], v[15:16]
	v_add_f64 v[23:24], v[17:18], -v[23:24]
	v_add_f64 v[13:14], v[13:14], v[19:20]
	v_fma_f64 v[19:20], v[17:18], v[15:16], -v[21:22]
	v_add_f64 v[11:12], v[11:12], -v[23:24]
	v_fma_f64 v[13:14], v[17:18], v[13:14], v[19:20]
	v_fma_f64 v[11:12], v[11:12], v[15:16], v[13:14]
	v_frexp_exp_i32_f64_e32 v15, s[22:23]
	v_add_f64 v[13:14], v[21:22], v[11:12]
	v_subbrev_co_u32_e32 v19, vcc, 0, v15, vcc
	v_cvt_f64_i32_e32 v[19:20], v19
	v_add_f64 v[15:16], v[5:6], v[13:14]
	v_add_f64 v[17:18], v[13:14], -v[21:22]
	v_mul_f64 v[21:22], v[19:20], s[52:53]
	v_add_f64 v[5:6], v[15:16], -v[5:6]
	v_add_f64 v[11:12], v[11:12], -v[17:18]
	v_fma_f64 v[17:18], v[19:20], s[52:53], -v[21:22]
	v_add_f64 v[5:6], v[13:14], -v[5:6]
	v_add_f64 v[9:10], v[9:10], v[11:12]
	v_fma_f64 v[11:12], v[19:20], s[56:57], v[17:18]
	v_add_f64 v[5:6], v[9:10], v[5:6]
	v_add_f64 v[9:10], v[21:22], v[11:12]
	;; [unrolled: 1-line block ×3, first 2 shown]
	v_add_f64 v[21:22], v[9:10], -v[21:22]
	v_add_f64 v[17:18], v[9:10], v[13:14]
	v_add_f64 v[15:16], v[13:14], -v[15:16]
	v_add_f64 v[11:12], v[11:12], -v[21:22]
	v_add_f64 v[19:20], v[17:18], -v[9:10]
	v_add_f64 v[5:6], v[5:6], -v[15:16]
	v_add_f64 v[23:24], v[17:18], -v[19:20]
	v_add_f64 v[13:14], v[13:14], -v[19:20]
	v_add_f64 v[15:16], v[11:12], v[5:6]
	v_add_f64 v[9:10], v[9:10], -v[23:24]
	v_trunc_f64_e32 v[23:24], v[1:2]
	v_add_f64 v[9:10], v[13:14], v[9:10]
	v_add_f64 v[13:14], v[15:16], -v[11:12]
	v_add_f64 v[9:10], v[15:16], v[9:10]
	v_add_f64 v[15:16], v[15:16], -v[13:14]
	v_add_f64 v[5:6], v[5:6], -v[13:14]
	v_add_f64 v[19:20], v[17:18], v[9:10]
	v_add_f64 v[11:12], v[11:12], -v[15:16]
	;; [unrolled: 3-line block ×3, first 2 shown]
	v_add_f64 v[5:6], v[5:6], v[9:10]
	v_add_f64 v[9:10], v[19:20], v[5:6]
	v_add_f64 v[11:12], v[9:10], -v[19:20]
	v_mul_f64 v[13:14], v[1:2], v[9:10]
	v_mov_b32_e32 v20, s3
	v_mov_b32_e32 v19, s2
	v_add_f64 v[5:6], v[5:6], -v[11:12]
	v_fma_f64 v[9:10], v[1:2], v[9:10], -v[13:14]
	v_cmp_class_f64_e64 vcc, v[13:14], s33
	v_fma_f64 v[9:10], v[1:2], v[5:6], v[9:10]
	v_add_f64 v[5:6], v[13:14], v[9:10]
	v_cndmask_b32_e32 v12, v6, v14, vcc
	v_cndmask_b32_e32 v11, v5, v13, vcc
	v_mul_f64 v[15:16], v[11:12], s[58:59]
	v_add_f64 v[13:14], v[5:6], -v[13:14]
	v_cmp_neq_f64_e64 vcc, s[18:19], 1.0
	v_cmp_nlt_f64_e64 s[6:7], s[80:81], v[11:12]
	v_cmp_neq_f64_e64 s[2:3], |v[11:12]|, s[76:77]
	v_cmp_ngt_f64_e64 s[8:9], s[82:83], v[11:12]
	v_mov_b32_e32 v6, 0x7ff80000
	v_rndne_f64_e32 v[15:16], v[15:16]
	v_fma_f64 v[17:18], v[15:16], s[60:61], v[11:12]
	v_cvt_i32_f64_e32 v5, v[15:16]
	v_fma_f64 v[17:18], v[15:16], s[62:63], v[17:18]
	v_fma_f64 v[21:22], v[17:18], s[64:65], v[19:20]
	;; [unrolled: 1-line block ×10, first 2 shown]
	v_fma_f64 v[21:22], v[17:18], v[21:22], 1.0
	v_fma_f64 v[17:18], v[17:18], v[21:22], 1.0
	v_mul_f64 v[21:22], v[1:2], 0.5
	v_ldexp_f64 v[15:16], v[17:18], v5
	v_trunc_f64_e32 v[25:26], v[21:22]
	v_cndmask_b32_e32 v17, v27, v8, vcc
	v_add_f64 v[8:9], v[9:10], -v[13:14]
	v_cndmask_b32_e64 v5, v31, v16, s[6:7]
	v_cndmask_b32_e32 v16, 0, v7, vcc
	v_cmp_eq_f64_e32 vcc, v[23:24], v[1:2]
	v_cmp_neq_f64_e64 s[10:11], v[25:26], v[21:22]
	v_cndmask_b32_e64 v9, 0, v9, s[2:3]
	v_cndmask_b32_e64 v8, 0, v8, s[2:3]
	s_and_b64 s[2:3], s[8:9], s[6:7]
	v_cndmask_b32_e64 v11, 0, v5, s[8:9]
	v_cndmask_b32_e64 v10, 0, v15, s[2:3]
	v_cmp_lt_f64_e64 s[6:7], |s[22:23]|, 1.0
	v_fma_f64 v[7:8], v[10:11], v[8:9], v[10:11]
	s_and_b64 s[10:11], vcc, s[10:11]
	s_and_b64 s[2:3], s[10:11], exec
	v_cmp_class_f64_e64 s[2:3], v[10:11], s33
	v_cmp_neq_f64_e64 s[8:9], |s[22:23]|, 1.0
	s_cselect_b32 s88, s23, 0x3ff00000
	s_xor_b64 s[6:7], s[48:49], s[6:7]
	s_and_b64 s[6:7], s[6:7], exec
	s_cselect_b32 s48, 0, 0x7ff00000
	v_cndmask_b32_e64 v5, v7, v10, s[2:3]
	v_cndmask_b32_e64 v7, v8, v11, s[2:3]
	v_mov_b32_e32 v8, s88
	v_bfi_b32 v8, s90, v7, v8
	s_and_b64 s[6:7], s[8:9], exec
	v_cndmask_b32_e32 v9, v6, v8, vcc
	v_cndmask_b32_e32 v7, 0, v5, vcc
	v_cmp_lt_f64_e64 vcc, s[22:23], 0
	v_cmp_gt_f64_e64 s[6:7], 0, v[1:2]
	v_cmp_eq_f64_e64 s[8:9], s[22:23], 0
	s_cselect_b32 s2, s48, 0x3ff00000
	v_mov_b32_e32 v10, s2
	v_cmp_class_f64_e64 s[2:3], s[22:23], v32
	v_cndmask_b32_e32 v7, v5, v7, vcc
	v_cndmask_b32_e32 v5, v8, v9, vcc
	v_cmp_class_f64_e64 vcc, v[1:2], s33
	s_xor_b64 s[48:49], s[6:7], s[8:9]
	v_cmp_neq_f64_e64 s[6:7], 0, v[16:17]
	s_or_b64 s[2:3], s[8:9], s[2:3]
	s_and_b64 s[8:9], s[48:49], exec
	s_cselect_b32 s48, 0, 0x7ff00000
	s_and_b64 s[8:9], s[10:11], exec
	s_cselect_b32 s8, s23, 0
	v_mov_b32_e32 v8, s48
	v_mov_b32_e32 v9, s8
	v_cndmask_b32_e32 v5, v5, v10, vcc
	v_bfi_b32 v8, s90, v8, v9
	s_or_b64 s[48:49], s[2:3], vcc
	v_cndmask_b32_e64 v5, v5, v8, s[2:3]
	s_and_b64 s[2:3], s[6:7], exec
	s_cselect_b32 s89, s19, 0x3ff00000
	s_cselect_b32 s88, s18, 0
	v_frexp_mant_f64_e64 v[8:9], |s[88:89]|
	v_cmp_gt_f64_e32 vcc, s[12:13], v[8:9]
	v_cndmask_b32_e64 v10, 0, 1, vcc
	v_ldexp_f64 v[8:9], v[8:9], v10
	v_add_f64 v[10:11], v[8:9], 1.0
	v_add_f64 v[21:22], v[8:9], -1.0
	v_rcp_f64_e32 v[12:13], v[10:11]
	v_add_f64 v[23:24], v[10:11], -1.0
	v_add_f64 v[8:9], v[8:9], -v[23:24]
	v_fma_f64 v[14:15], -v[10:11], v[12:13], 1.0
	v_fma_f64 v[12:13], v[14:15], v[12:13], v[12:13]
	v_fma_f64 v[14:15], -v[10:11], v[12:13], 1.0
	v_fma_f64 v[12:13], v[14:15], v[12:13], v[12:13]
	v_mul_f64 v[14:15], v[21:22], v[12:13]
	v_mul_f64 v[25:26], v[10:11], v[14:15]
	v_fma_f64 v[10:11], v[14:15], v[10:11], -v[25:26]
	v_fma_f64 v[8:9], v[14:15], v[8:9], v[10:11]
	v_add_f64 v[10:11], v[25:26], v[8:9]
	v_add_f64 v[23:24], v[21:22], -v[10:11]
	v_add_f64 v[25:26], v[10:11], -v[25:26]
	v_add_f64 v[21:22], v[21:22], -v[23:24]
	v_add_f64 v[8:9], v[25:26], -v[8:9]
	v_add_f64 v[10:11], v[21:22], -v[10:11]
	v_add_f64 v[8:9], v[8:9], v[10:11]
	v_add_f64 v[8:9], v[23:24], v[8:9]
	v_mul_f64 v[8:9], v[12:13], v[8:9]
	v_add_f64 v[10:11], v[14:15], v[8:9]
	v_add_f64 v[12:13], v[10:11], -v[14:15]
	v_mul_f64 v[14:15], v[10:11], v[10:11]
	v_add_f64 v[8:9], v[8:9], -v[12:13]
	v_fma_f64 v[12:13], v[10:11], v[10:11], -v[14:15]
	v_add_f64 v[21:22], v[8:9], v[8:9]
	v_fma_f64 v[12:13], v[10:11], v[21:22], v[12:13]
	v_add_f64 v[21:22], v[14:15], v[12:13]
	v_fma_f64 v[3:4], v[21:22], s[30:31], v[3:4]
	v_add_f64 v[14:15], v[21:22], -v[14:15]
	v_mul_f64 v[27:28], v[10:11], v[21:22]
	v_cmp_neq_f64_e64 s[30:31], v[16:17], |v[16:17]|
	v_fma_f64 v[3:4], v[21:22], v[3:4], s[34:35]
	v_add_f64 v[12:13], v[12:13], -v[14:15]
	v_fma_f64 v[3:4], v[21:22], v[3:4], s[36:37]
	v_cmp_lt_f64_e64 s[36:37], |s[88:89]|, 1.0
	v_fma_f64 v[3:4], v[21:22], v[3:4], s[38:39]
	v_cmp_neq_f64_e64 s[38:39], |s[88:89]|, 1.0
	v_fma_f64 v[3:4], v[21:22], v[3:4], s[40:41]
	v_fma_f64 v[3:4], v[21:22], v[3:4], s[42:43]
	v_fma_f64 v[3:4], v[21:22], v[3:4], s[44:45]
	v_fma_f64 v[3:4], v[21:22], v[3:4], s[46:47]
	v_mul_f64 v[23:24], v[21:22], v[3:4]
	v_fma_f64 v[14:15], v[21:22], v[3:4], -v[23:24]
	v_fma_f64 v[3:4], v[12:13], v[3:4], v[14:15]
	v_add_f64 v[14:15], v[23:24], v[3:4]
	v_add_f64 v[25:26], v[14:15], s[12:13]
	v_add_f64 v[23:24], v[14:15], -v[23:24]
	v_cmp_gt_f64_e64 s[12:13], 0, v[16:17]
	v_add_f64 v[29:30], v[25:26], s[50:51]
	v_add_f64 v[3:4], v[3:4], -v[23:24]
	v_fma_f64 v[23:24], v[21:22], v[10:11], -v[27:28]
	v_add_f64 v[14:15], v[14:15], -v[29:30]
	v_add_f64 v[3:4], v[3:4], s[54:55]
	v_fma_f64 v[21:22], v[21:22], v[8:9], v[23:24]
	v_ldexp_f64 v[8:9], v[8:9], 1
	v_add_f64 v[3:4], v[3:4], v[14:15]
	v_fma_f64 v[12:13], v[12:13], v[10:11], v[21:22]
	v_ldexp_f64 v[10:11], v[10:11], 1
	v_add_f64 v[14:15], v[25:26], v[3:4]
	v_add_f64 v[21:22], v[27:28], v[12:13]
	v_add_f64 v[23:24], v[25:26], -v[14:15]
	v_mul_f64 v[25:26], v[21:22], v[14:15]
	v_add_f64 v[27:28], v[21:22], -v[27:28]
	v_add_f64 v[3:4], v[3:4], v[23:24]
	v_fma_f64 v[23:24], v[21:22], v[14:15], -v[25:26]
	v_add_f64 v[12:13], v[12:13], -v[27:28]
	v_fma_f64 v[3:4], v[21:22], v[3:4], v[23:24]
	v_fma_f64 v[3:4], v[12:13], v[14:15], v[3:4]
	v_frexp_exp_i32_f64_e32 v14, s[88:89]
	v_add_f64 v[12:13], v[25:26], v[3:4]
	v_subbrev_co_u32_e32 v18, vcc, 0, v14, vcc
	v_cvt_f64_i32_e32 v[23:24], v18
	v_add_f64 v[14:15], v[10:11], v[12:13]
	v_add_f64 v[21:22], v[12:13], -v[25:26]
	v_mul_f64 v[25:26], v[23:24], s[52:53]
	v_add_f64 v[10:11], v[14:15], -v[10:11]
	v_add_f64 v[3:4], v[3:4], -v[21:22]
	v_fma_f64 v[21:22], v[23:24], s[52:53], -v[25:26]
	v_add_f64 v[10:11], v[12:13], -v[10:11]
	v_add_f64 v[3:4], v[8:9], v[3:4]
	v_fma_f64 v[8:9], v[23:24], s[56:57], v[21:22]
	v_add_f64 v[3:4], v[3:4], v[10:11]
	v_add_f64 v[10:11], v[25:26], v[8:9]
	;; [unrolled: 1-line block ×3, first 2 shown]
	v_add_f64 v[25:26], v[10:11], -v[25:26]
	v_add_f64 v[21:22], v[10:11], v[12:13]
	v_add_f64 v[14:15], v[12:13], -v[14:15]
	v_add_f64 v[8:9], v[8:9], -v[25:26]
	;; [unrolled: 1-line block ×6, first 2 shown]
	v_add_f64 v[14:15], v[8:9], v[3:4]
	v_add_f64 v[10:11], v[10:11], -v[27:28]
	v_add_f64 v[10:11], v[12:13], v[10:11]
	v_add_f64 v[12:13], v[14:15], -v[8:9]
	;; [unrolled: 2-line block ×3, first 2 shown]
	v_add_f64 v[3:4], v[3:4], -v[12:13]
	v_add_f64 v[23:24], v[21:22], v[10:11]
	v_add_f64 v[8:9], v[8:9], -v[14:15]
	v_add_f64 v[12:13], v[23:24], -v[21:22]
	v_add_f64 v[3:4], v[3:4], v[8:9]
	v_add_f64 v[8:9], v[10:11], -v[12:13]
	v_add_f64 v[3:4], v[3:4], v[8:9]
	v_add_f64 v[8:9], v[23:24], v[3:4]
	v_add_f64 v[10:11], v[8:9], -v[23:24]
	v_mul_f64 v[12:13], v[16:17], v[8:9]
	v_mul_f64 v[23:24], v[16:17], 0.5
	v_add_f64 v[3:4], v[3:4], -v[10:11]
	v_fma_f64 v[8:9], v[16:17], v[8:9], -v[12:13]
	v_cmp_class_f64_e64 vcc, v[12:13], s33
	v_trunc_f64_e32 v[25:26], v[23:24]
	v_fma_f64 v[3:4], v[16:17], v[3:4], v[8:9]
	v_cmp_neq_f64_e64 s[2:3], v[25:26], v[23:24]
	v_add_f64 v[8:9], v[12:13], v[3:4]
	v_cndmask_b32_e32 v11, v9, v13, vcc
	v_cndmask_b32_e32 v10, v8, v12, vcc
	v_mul_f64 v[14:15], v[10:11], s[58:59]
	v_add_f64 v[8:9], v[8:9], -v[12:13]
	v_cmp_nlt_f64_e64 s[8:9], s[80:81], v[10:11]
	v_cmp_ngt_f64_e64 s[10:11], s[82:83], v[10:11]
	v_cmp_neq_f64_e64 s[6:7], |v[10:11]|, s[76:77]
	v_rndne_f64_e32 v[14:15], v[14:15]
	v_add_f64 v[3:4], v[3:4], -v[8:9]
	v_fma_f64 v[21:22], v[14:15], s[60:61], v[10:11]
	v_cndmask_b32_e64 v4, 0, v4, s[6:7]
	v_cndmask_b32_e64 v3, 0, v3, s[6:7]
	v_cmp_class_f64_e64 s[6:7], s[88:89], v32
	v_fma_f64 v[21:22], v[14:15], s[62:63], v[21:22]
	v_cvt_i32_f64_e32 v14, v[14:15]
	v_fma_f64 v[18:19], v[21:22], s[64:65], v[19:20]
	v_fma_f64 v[18:19], v[21:22], v[18:19], s[66:67]
	;; [unrolled: 1-line block ×9, first 2 shown]
	v_fma_f64 v[18:19], v[21:22], v[18:19], 1.0
	v_fma_f64 v[18:19], v[21:22], v[18:19], 1.0
	v_trunc_f64_e32 v[20:21], v[16:17]
	v_ldexp_f64 v[12:13], v[18:19], v14
	v_cmp_eq_f64_e32 vcc, v[20:21], v[16:17]
	v_cndmask_b32_e64 v8, v31, v13, s[8:9]
	s_and_b64 s[34:35], vcc, s[2:3]
	s_and_b64 s[2:3], s[10:11], s[8:9]
	v_cndmask_b32_e64 v9, 0, v8, s[10:11]
	v_cndmask_b32_e64 v8, 0, v12, s[2:3]
	v_fma_f64 v[3:4], v[8:9], v[3:4], v[8:9]
	v_cmp_class_f64_e64 s[2:3], v[8:9], s33
	s_and_b64 s[10:11], s[34:35], exec
	s_cselect_b32 s40, s89, 0x3ff00000
	v_mov_b32_e32 v10, s40
	v_cmp_eq_f64_e64 s[8:9], s[88:89], 0
	s_xor_b64 s[10:11], s[30:31], s[36:37]
	v_cndmask_b32_e64 v4, v4, v9, s[2:3]
	v_cndmask_b32_e64 v3, v3, v8, s[2:3]
	v_bfi_b32 v4, s90, v4, v10
	v_cndmask_b32_e32 v8, v6, v4, vcc
	v_cndmask_b32_e32 v9, 0, v3, vcc
	v_cmp_lt_f64_e64 vcc, s[88:89], 0
	s_and_b64 s[2:3], s[10:11], exec
	s_cselect_b32 s10, 0, 0x7ff00000
	s_and_b64 s[2:3], s[38:39], exec
	s_cselect_b32 s2, s10, 0x3ff00000
	s_xor_b64 s[10:11], s[12:13], s[8:9]
	v_mov_b32_e32 v10, s2
	s_or_b64 s[2:3], s[8:9], s[6:7]
	v_cndmask_b32_e32 v3, v3, v9, vcc
	v_cndmask_b32_e32 v4, v4, v8, vcc
	v_cmp_class_f64_e64 vcc, v[16:17], s33
	s_and_b64 s[6:7], s[10:11], exec
	s_cselect_b32 s8, 0, 0x7ff00000
	s_and_b64 s[6:7], s[34:35], exec
	s_cselect_b32 s6, s89, 0
	v_mov_b32_e32 v8, s8
	v_mov_b32_e32 v9, s6
	v_bfi_b32 v8, s90, v8, v9
	v_cndmask_b32_e32 v4, v4, v10, vcc
	v_cndmask_b32_e64 v4, v4, v8, s[2:3]
	s_or_b64 s[2:3], s[2:3], vcc
	v_cndmask_b32_e64 v3, v3, 0, s[2:3]
	v_add_f64 v[3:4], -v[3:4], 1.0
	v_cmp_o_f64_e32 vcc, s[88:89], v[16:17]
	s_mov_b32 s2, 0
	s_brev_b32 s3, 8
	v_mov_b32_e32 v16, 0x260
	v_cndmask_b32_e32 v4, v6, v4, vcc
	v_cndmask_b32_e32 v3, 0, v3, vcc
	v_cmp_gt_f64_e32 vcc, s[2:3], v[3:4]
	s_and_b64 s[2:3], vcc, exec
	s_cselect_b32 s2, 0x100, 0
	v_ldexp_f64 v[8:9], v[3:4], s2
	v_cmp_o_f64_e32 vcc, s[22:23], v[1:2]
	s_load_dwordx2 s[34:35], s[4:5], s15 offset:0x0
	s_load_dwordx2 s[30:31], s[4:5], s15 offset:0x120
	;; [unrolled: 1-line block ×4, first 2 shown]
	s_cselect_b32 s38, 0xffffff80, 0
	s_ashr_i32 s15, s14, 31
	s_lshl_b64 s[10:11], s[14:15], 16
	s_sub_u32 s36, s28, s10
	s_subb_u32 s37, s29, s11
	v_rsq_f64_e32 v[3:4], v[8:9]
	s_lshl_b64 s[14:15], s[14:15], 19
	s_waitcnt lgkmcnt(0)
	s_add_u32 s33, s34, s14
	s_addc_u32 s46, s35, s15
	s_and_b32 s2, s33, 31
	s_mov_b32 s3, 0
	s_add_u32 s47, s30, s14
	s_mov_b32 s7, s3
	s_mov_b32 s9, s3
	v_mul_f64 v[10:11], v[8:9], v[3:4]
	v_mul_f64 v[12:13], v[3:4], 0.5
	v_cndmask_b32_e64 v4, v7, 0, s[48:49]
	v_add_f64 v[3:4], -v[4:5], 1.0
	s_addc_u32 s48, s31, s15
	s_and_b32 s6, s47, 31
	s_cmp_lg_u64 s[6:7], 0
	s_cselect_b64 s[6:7], -1, 0
	s_add_u32 s49, s22, s14
	v_fma_f64 v[14:15], -v[12:13], v[10:11], 0.5
	s_addc_u32 s50, s23, s15
	v_cndmask_b32_e32 v38, v6, v4, vcc
	v_cndmask_b32_e32 v37, 0, v3, vcc
	s_add_u32 s51, s12, s14
	s_addc_u32 s52, s13, s15
	s_or_b32 s8, s51, s49
	s_and_b32 s8, s8, 31
	v_fma_f64 v[10:11], v[10:11], v[14:15], v[10:11]
	v_fma_f64 v[1:2], v[12:13], v[14:15], v[12:13]
	s_cmp_lg_u32 s8, 0
	s_cselect_b64 s[10:11], -1, 0
	s_and_b32 s8, s28, 3
	s_or_b64 s[8:9], s[2:3], s[8:9]
	v_cmp_class_f64_e64 s[2:3], v[8:9], v16
	s_or_b64 s[6:7], s[10:11], s[6:7]
	v_fma_f64 v[12:13], -v[10:11], v[10:11], v[8:9]
	s_cmp_lg_u64 s[8:9], 0
	s_cselect_b64 s[8:9], -1, 0
	s_or_b64 s[6:7], s[6:7], s[8:9]
	s_andn2_b64 vcc, exec, s[6:7]
	v_fma_f64 v[3:4], v[12:13], v[1:2], v[10:11]
	v_fma_f64 v[5:6], -v[3:4], v[3:4], v[8:9]
	v_fma_f64 v[1:2], v[5:6], v[1:2], v[3:4]
	v_ldexp_f64 v[1:2], v[1:2], s38
	v_cndmask_b32_e64 v36, v2, v9, s[2:3]
	v_cndmask_b32_e64 v35, v1, v8, s[2:3]
	s_mov_b64 s[2:3], -1
	s_cbranch_vccz .LBB1_20
; %bb.6:
	v_mov_b32_e32 v1, 0x10000
	v_mov_b32_e32 v2, 0
	v_cmp_lt_i64_e32 vcc, s[36:37], v[1:2]
	v_mov_b32_e32 v40, 0
	s_and_b64 s[2:3], vcc, exec
	s_cselect_b32 s29, s37, 0
	s_cselect_b32 s28, s36, 0x10000
	v_lshlrev_b32_e32 v39, 2, v0
	v_cmp_gt_i64_e32 vcc, s[28:29], v[39:40]
	s_and_saveexec_b64 s[38:39], vcc
	s_cbranch_execz .LBB1_19
; %bb.7:
	v_div_scale_f64 v[1:2], s[2:3], v[37:38], v[37:38], v[33:34]
	v_cmp_neq_f64_e64 s[2:3], s[24:25], 0
	v_mul_f64 v[41:42], s[24:25], v[33:34]
	s_load_dword s6, s[4:5], 0xd64
	s_cmp_lg_u64 s[20:21], 0
	s_cselect_b64 s[42:43], -1, 0
	s_mov_b32 s44, 0
	s_mov_b64 s[40:41], 0
	s_waitcnt lgkmcnt(0)
	s_and_b32 s53, s6, 0xffff
	v_lshlrev_b32_e32 v39, 5, v0
	s_lshl_b32 s54, s53, 5
	s_brev_b32 s45, 8
	v_mov_b32_e32 v59, 0x260
	v_mov_b32_e32 v60, 0x100
	;; [unrolled: 1-line block ×3, first 2 shown]
	v_rcp_f64_e32 v[3:4], v[1:2]
	v_fma_f64 v[5:6], -v[1:2], v[3:4], 1.0
	v_fma_f64 v[3:4], v[3:4], v[5:6], v[3:4]
	v_div_scale_f64 v[5:6], vcc, v[33:34], v[37:38], v[33:34]
	v_fma_f64 v[7:8], -v[1:2], v[3:4], 1.0
	v_fma_f64 v[3:4], v[3:4], v[7:8], v[3:4]
	v_mul_f64 v[7:8], v[5:6], v[3:4]
	v_fma_f64 v[1:2], -v[1:2], v[7:8], v[5:6]
	v_div_fmas_f64 v[2:3], v[1:2], v[3:4], v[7:8]
	v_mov_b32_e32 v1, v40
	v_mov_b32_e32 v46, v1
	;; [unrolled: 1-line block ×3, first 2 shown]
	v_div_fixup_f64 v[43:44], v[2:3], v[37:38], v[33:34]
	s_branch .LBB1_9
.LBB1_8:                                ;   in Loop: Header=BB1_9 Depth=1
	s_add_u32 s51, s51, s54
	s_addc_u32 s52, s52, 0
	v_add_co_u32_e32 v45, vcc, s53, v45
	s_add_u32 s33, s33, s54
	v_addc_co_u32_e32 v46, vcc, 0, v46, vcc
	s_addc_u32 s46, s46, 0
	v_lshlrev_b64 v[1:2], 2, v[45:46]
	s_add_u32 s49, s49, s54
	s_addc_u32 s50, s50, 0
	s_add_u32 s47, s47, s54
	v_cmp_le_i64_e32 vcc, s[28:29], v[1:2]
	s_addc_u32 s48, s48, 0
	s_or_b64 s[40:41], vcc, s[40:41]
	global_store_dwordx4 v[49:50], v[25:28], off
	global_store_dwordx4 v[49:50], v[17:20], off offset:16
	global_store_dwordx4 v[47:48], v[29:32], off
	global_store_dwordx4 v[47:48], v[21:24], off offset:16
	s_andn2_b64 exec, exec, s[40:41]
	s_cbranch_execz .LBB1_19
.LBB1_9:                                ; =>This Inner Loop Header: Depth=1
	v_mov_b32_e32 v1, s46
	v_add_co_u32_e32 v53, vcc, s33, v39
	v_addc_co_u32_e32 v54, vcc, 0, v1, vcc
	v_mov_b32_e32 v1, s48
	v_add_co_u32_e32 v51, vcc, s47, v39
	v_addc_co_u32_e32 v52, vcc, 0, v1, vcc
	;; [unrolled: 3-line block ×4, first 2 shown]
	global_load_dwordx4 v[9:12], v[53:54], off offset:16
	global_load_dwordx4 v[13:16], v[53:54], off
	global_load_dwordx4 v[1:4], v[51:52], off offset:16
	global_load_dwordx4 v[5:8], v[51:52], off
	;; [unrolled: 2-line block ×4, first 2 shown]
	v_cndmask_b32_e64 v55, 0, 1, s[42:43]
	v_cmp_ne_u32_e64 s[6:7], 1, v55
	s_andn2_b64 vcc, exec, s[42:43]
	s_cbranch_vccnz .LBB1_11
; %bb.10:                               ;   in Loop: Header=BB1_9 Depth=1
	global_load_dword v55, v40, s[20:21]
	s_waitcnt vmcnt(0)
	v_cvt_f64_f32_e32 v[55:56], v55
	v_div_scale_f64 v[57:58], s[8:9], v[55:56], v[55:56], v[5:6]
	v_div_scale_f64 v[66:67], vcc, v[5:6], v[55:56], v[5:6]
	v_rcp_f64_e32 v[62:63], v[57:58]
	v_fma_f64 v[64:65], -v[57:58], v[62:63], 1.0
	v_fma_f64 v[62:63], v[62:63], v[64:65], v[62:63]
	v_fma_f64 v[64:65], -v[57:58], v[62:63], 1.0
	v_fma_f64 v[62:63], v[62:63], v[64:65], v[62:63]
	v_mul_f64 v[64:65], v[66:67], v[62:63]
	v_fma_f64 v[57:58], -v[57:58], v[64:65], v[66:67]
	v_div_fmas_f64 v[57:58], v[57:58], v[62:63], v[64:65]
	v_div_fixup_f64 v[5:6], v[57:58], v[55:56], v[5:6]
.LBB1_11:                               ;   in Loop: Header=BB1_9 Depth=1
	s_and_b64 vcc, exec, s[6:7]
	s_cbranch_vccnz .LBB1_13
; %bb.12:                               ;   in Loop: Header=BB1_9 Depth=1
	global_load_dword v55, v40, s[20:21]
	s_waitcnt vmcnt(0)
	v_cvt_f64_f32_e32 v[55:56], v55
	v_div_scale_f64 v[57:58], s[8:9], v[55:56], v[55:56], v[7:8]
	v_div_scale_f64 v[66:67], vcc, v[7:8], v[55:56], v[7:8]
	v_rcp_f64_e32 v[62:63], v[57:58]
	v_fma_f64 v[64:65], -v[57:58], v[62:63], 1.0
	v_fma_f64 v[62:63], v[62:63], v[64:65], v[62:63]
	v_fma_f64 v[64:65], -v[57:58], v[62:63], 1.0
	v_fma_f64 v[62:63], v[62:63], v[64:65], v[62:63]
	v_mul_f64 v[64:65], v[66:67], v[62:63]
	v_fma_f64 v[57:58], -v[57:58], v[64:65], v[66:67]
	v_div_fmas_f64 v[57:58], v[57:58], v[62:63], v[64:65]
	v_div_fixup_f64 v[7:8], v[57:58], v[55:56], v[7:8]
.LBB1_13:                               ;   in Loop: Header=BB1_9 Depth=1
	s_and_b64 vcc, exec, s[6:7]
	;; [unrolled: 18-line block ×3, first 2 shown]
	s_cbranch_vccnz .LBB1_17
; %bb.16:                               ;   in Loop: Header=BB1_9 Depth=1
	global_load_dword v55, v40, s[20:21]
	s_waitcnt vmcnt(0)
	v_cvt_f64_f32_e32 v[55:56], v55
	v_div_scale_f64 v[57:58], s[8:9], v[55:56], v[55:56], v[3:4]
	v_div_scale_f64 v[66:67], vcc, v[3:4], v[55:56], v[3:4]
	v_rcp_f64_e32 v[62:63], v[57:58]
	v_fma_f64 v[64:65], -v[57:58], v[62:63], 1.0
	v_fma_f64 v[62:63], v[62:63], v[64:65], v[62:63]
	v_fma_f64 v[64:65], -v[57:58], v[62:63], 1.0
	v_fma_f64 v[62:63], v[62:63], v[64:65], v[62:63]
	v_mul_f64 v[64:65], v[66:67], v[62:63]
	v_fma_f64 v[57:58], -v[57:58], v[64:65], v[66:67]
	v_div_fmas_f64 v[57:58], v[57:58], v[62:63], v[64:65]
	v_div_fixup_f64 v[3:4], v[57:58], v[55:56], v[3:4]
.LBB1_17:                               ;   in Loop: Header=BB1_9 Depth=1
	s_waitcnt vmcnt(5)
	v_xor_b32_e32 v55, 0x80000000, v2
	v_cndmask_b32_e64 v56, v2, v55, s[0:1]
	v_mov_b32_e32 v55, v1
	v_mul_f64 v[57:58], v[55:56], v[55:56]
	v_fma_f64 v[55:56], -s[16:17], v[55:56], v[55:56]
	v_fma_f64 v[57:58], -s[18:19], v[57:58], v[57:58]
	s_waitcnt vmcnt(3)
	v_fma_f64 v[17:18], s[16:17], v[17:18], v[55:56]
	v_xor_b32_e32 v55, 0x80000000, v6
	s_waitcnt vmcnt(1)
	v_fma_f64 v[21:22], s[18:19], v[21:22], v[57:58]
	v_cmp_gt_f64_e32 vcc, s[44:45], v[21:22]
	v_cndmask_b32_e32 v57, 0, v60, vcc
	v_ldexp_f64 v[57:58], v[21:22], v57
	v_rsq_f64_e32 v[62:63], v[57:58]
	v_mul_f64 v[64:65], v[57:58], v[62:63]
	v_mul_f64 v[62:63], v[62:63], 0.5
	v_fma_f64 v[66:67], -v[62:63], v[64:65], 0.5
	v_fma_f64 v[64:65], v[64:65], v[66:67], v[64:65]
	v_fma_f64 v[62:63], v[62:63], v[66:67], v[62:63]
	v_fma_f64 v[66:67], -v[64:65], v[64:65], v[57:58]
	v_fma_f64 v[64:65], v[66:67], v[62:63], v[64:65]
	v_fma_f64 v[66:67], -v[64:65], v[64:65], v[57:58]
	v_fma_f64 v[62:63], v[66:67], v[62:63], v[64:65]
	v_cndmask_b32_e32 v64, 0, v61, vcc
	v_xor_b32_e32 v65, 0x80000000, v8
	v_cndmask_b32_e64 v65, v8, v65, s[0:1]
	v_cmp_class_f64_e32 vcc, v[57:58], v59
	v_ldexp_f64 v[62:63], v[62:63], v64
	v_mov_b32_e32 v64, v7
	v_mul_f64 v[66:67], v[64:65], v[64:65]
	v_fma_f64 v[64:65], -s[16:17], v[64:65], v[64:65]
	v_cndmask_b32_e32 v58, v63, v58, vcc
	v_cndmask_b32_e32 v57, v62, v57, vcc
	v_fma_f64 v[66:67], -s[18:19], v[66:67], v[66:67]
	v_div_scale_f64 v[62:63], s[8:9], v[35:36], v[35:36], v[57:58]
	v_div_scale_f64 v[74:75], vcc, v[57:58], v[35:36], v[57:58]
	v_fma_f64 v[27:28], s[16:17], v[27:28], v[64:65]
	s_waitcnt vmcnt(0)
	v_fma_f64 v[31:32], s[18:19], v[31:32], v[66:67]
	v_cmp_gt_f64_e64 s[8:9], s[44:45], v[31:32]
	v_rcp_f64_e32 v[66:67], v[62:63]
	v_cndmask_b32_e64 v68, 0, v60, s[8:9]
	v_ldexp_f64 v[68:69], v[31:32], v68
	v_fma_f64 v[72:73], -v[62:63], v[66:67], 1.0
	v_rsq_f64_e32 v[70:71], v[68:69]
	v_fma_f64 v[66:67], v[66:67], v[72:73], v[66:67]
	v_fma_f64 v[76:77], -v[62:63], v[66:67], 1.0
	v_mul_f64 v[72:73], v[68:69], v[70:71]
	v_mul_f64 v[70:71], v[70:71], 0.5
	v_fma_f64 v[66:67], v[66:67], v[76:77], v[66:67]
	v_fma_f64 v[78:79], -v[70:71], v[72:73], 0.5
	v_mul_f64 v[76:77], v[74:75], v[66:67]
	v_fma_f64 v[72:73], v[72:73], v[78:79], v[72:73]
	v_fma_f64 v[70:71], v[70:71], v[78:79], v[70:71]
	v_fma_f64 v[62:63], -v[62:63], v[76:77], v[74:75]
	v_fma_f64 v[78:79], -v[72:73], v[72:73], v[68:69]
	v_div_fmas_f64 v[62:63], v[62:63], v[66:67], v[76:77]
	v_cmp_class_f64_e32 vcc, v[68:69], v59
	v_fma_f64 v[72:73], v[78:79], v[70:71], v[72:73]
	v_fma_f64 v[66:67], -v[72:73], v[72:73], v[68:69]
	v_div_fixup_f64 v[57:58], v[62:63], v[35:36], v[57:58]
	v_mov_b32_e32 v62, v5
	v_fma_f64 v[66:67], v[66:67], v[70:71], v[72:73]
	v_cndmask_b32_e64 v63, v6, v55, s[0:1]
	v_cndmask_b32_e64 v55, 0, v61, s[8:9]
	v_mul_f64 v[70:71], v[62:63], v[62:63]
	v_fma_f64 v[62:63], -s[16:17], v[62:63], v[62:63]
	v_add_f64 v[57:58], s[26:27], v[57:58]
	v_ldexp_f64 v[66:67], v[66:67], v55
	v_mul_f64 v[55:56], v[43:44], v[17:18]
	v_fma_f64 v[70:71], -s[18:19], v[70:71], v[70:71]
	v_fma_f64 v[25:26], s[16:17], v[25:26], v[62:63]
	v_cndmask_b32_e32 v67, v67, v69, vcc
	v_div_scale_f64 v[72:73], s[8:9], v[57:58], v[57:58], v[55:56]
	v_cndmask_b32_e32 v66, v66, v68, vcc
	v_div_scale_f64 v[68:69], s[8:9], v[35:36], v[35:36], v[66:67]
	v_fma_f64 v[29:30], s[18:19], v[29:30], v[70:71]
	v_div_scale_f64 v[86:87], s[10:11], v[66:67], v[35:36], v[66:67]
	v_cmp_gt_f64_e64 s[8:9], s[44:45], v[29:30]
	v_rcp_f64_e32 v[70:71], v[72:73]
	v_rcp_f64_e32 v[74:75], v[68:69]
	v_cndmask_b32_e64 v76, 0, v60, s[8:9]
	v_ldexp_f64 v[76:77], v[29:30], v76
	v_rsq_f64_e32 v[78:79], v[76:77]
	v_fma_f64 v[80:81], -v[72:73], v[70:71], 1.0
	v_fma_f64 v[82:83], -v[68:69], v[74:75], 1.0
	v_fma_f64 v[70:71], v[70:71], v[80:81], v[70:71]
	v_fma_f64 v[74:75], v[74:75], v[82:83], v[74:75]
	v_div_scale_f64 v[82:83], vcc, v[55:56], v[57:58], v[55:56]
	v_mul_f64 v[80:81], v[76:77], v[78:79]
	v_mul_f64 v[78:79], v[78:79], 0.5
	v_fma_f64 v[84:85], -v[72:73], v[70:71], 1.0
	v_fma_f64 v[88:89], -v[68:69], v[74:75], 1.0
	;; [unrolled: 1-line block ×3, first 2 shown]
	v_fma_f64 v[70:71], v[70:71], v[84:85], v[70:71]
	v_fma_f64 v[74:75], v[74:75], v[88:89], v[74:75]
	;; [unrolled: 1-line block ×3, first 2 shown]
	v_mul_f64 v[84:85], v[82:83], v[70:71]
	v_fma_f64 v[78:79], v[78:79], v[90:91], v[78:79]
	v_mul_f64 v[88:89], v[86:87], v[74:75]
	v_fma_f64 v[90:91], -v[80:81], v[80:81], v[76:77]
	v_fma_f64 v[72:73], -v[72:73], v[84:85], v[82:83]
	;; [unrolled: 1-line block ×3, first 2 shown]
	v_fma_f64 v[80:81], v[90:91], v[78:79], v[80:81]
	v_div_fmas_f64 v[70:71], v[72:73], v[70:71], v[84:85]
	s_mov_b64 vcc, s[10:11]
	v_div_fmas_f64 v[68:69], v[68:69], v[74:75], v[88:89]
	v_cndmask_b32_e64 v74, 0, v61, s[8:9]
	v_cmp_class_f64_e32 vcc, v[76:77], v59
	v_fma_f64 v[72:73], -v[80:81], v[80:81], v[76:77]
	v_fma_f64 v[72:73], v[72:73], v[78:79], v[80:81]
	v_div_fixup_f64 v[55:56], v[70:71], v[57:58], v[55:56]
	v_fma_f64 v[57:58], -v[41:42], v[15:16], v[15:16]
	v_div_fixup_f64 v[64:65], v[68:69], v[35:36], v[66:67]
	v_xor_b32_e32 v67, 0x80000000, v4
	v_mov_b32_e32 v66, v3
	v_cndmask_b32_e64 v67, v4, v67, s[0:1]
	v_mul_f64 v[68:69], v[66:67], v[66:67]
	v_ldexp_f64 v[72:73], v[72:73], v74
	v_mul_f64 v[74:75], v[43:44], v[27:28]
	v_fma_f64 v[66:67], -s[16:17], v[66:67], v[66:67]
	v_add_f64 v[64:65], s[26:27], v[64:65]
	v_cndmask_b32_e64 v16, v16, v58, s[2:3]
	v_cndmask_b32_e64 v15, v15, v57, s[2:3]
	v_fma_f64 v[68:69], -s[18:19], v[68:69], v[68:69]
	v_cndmask_b32_e32 v73, v73, v77, vcc
	v_cndmask_b32_e32 v72, v72, v76, vcc
	v_div_scale_f64 v[79:80], s[8:9], v[35:36], v[35:36], v[72:73]
	v_div_scale_f64 v[77:78], s[8:9], v[64:65], v[64:65], v[74:75]
	v_div_scale_f64 v[93:94], s[10:11], v[72:73], v[35:36], v[72:73]
	v_fma_f64 v[23:24], s[18:19], v[23:24], v[68:69]
	v_fma_f64 v[19:20], s[16:17], v[19:20], v[66:67]
	v_cmp_gt_f64_e64 s[8:9], s[44:45], v[23:24]
	v_rcp_f64_e32 v[81:82], v[79:80]
	v_rcp_f64_e32 v[68:69], v[77:78]
	v_cndmask_b32_e64 v76, 0, v60, s[8:9]
	v_ldexp_f64 v[83:84], v[23:24], v76
	v_rsq_f64_e32 v[85:86], v[83:84]
	v_fma_f64 v[89:90], -v[79:80], v[81:82], 1.0
	v_fma_f64 v[87:88], -v[77:78], v[68:69], 1.0
	v_fma_f64 v[81:82], v[81:82], v[89:90], v[81:82]
	v_div_scale_f64 v[89:90], vcc, v[74:75], v[64:65], v[74:75]
	v_fma_f64 v[68:69], v[68:69], v[87:88], v[68:69]
	v_mul_f64 v[87:88], v[83:84], v[85:86]
	v_mul_f64 v[85:86], v[85:86], 0.5
	v_fma_f64 v[95:96], -v[79:80], v[81:82], 1.0
	v_fma_f64 v[91:92], -v[77:78], v[68:69], 1.0
	;; [unrolled: 1-line block ×3, first 2 shown]
	v_fma_f64 v[81:82], v[81:82], v[95:96], v[81:82]
	v_fma_f64 v[68:69], v[68:69], v[91:92], v[68:69]
	;; [unrolled: 1-line block ×3, first 2 shown]
	v_mul_f64 v[95:96], v[93:94], v[81:82]
	v_fma_f64 v[85:86], v[85:86], v[97:98], v[85:86]
	v_mul_f64 v[91:92], v[89:90], v[68:69]
	v_fma_f64 v[97:98], -v[87:88], v[87:88], v[83:84]
	v_fma_f64 v[76:77], -v[77:78], v[91:92], v[89:90]
	;; [unrolled: 1-line block ×3, first 2 shown]
	v_fma_f64 v[87:88], v[97:98], v[85:86], v[87:88]
	v_div_fmas_f64 v[68:69], v[76:77], v[68:69], v[91:92]
	s_mov_b64 vcc, s[10:11]
	v_div_fmas_f64 v[76:77], v[78:79], v[81:82], v[95:96]
	v_cmp_class_f64_e32 vcc, v[83:84], v59
	v_fma_f64 v[78:79], -v[87:88], v[87:88], v[83:84]
	v_fma_f64 v[78:79], v[78:79], v[85:86], v[87:88]
	v_div_fixup_f64 v[64:65], v[68:69], v[64:65], v[74:75]
	v_fma_f64 v[68:69], -v[41:42], v[13:14], v[13:14]
	v_div_fixup_f64 v[62:63], v[76:77], v[35:36], v[72:73]
	v_cndmask_b32_e64 v72, 0, v61, s[8:9]
	v_mul_f64 v[76:77], v[43:44], v[25:26]
	v_ldexp_f64 v[72:73], v[78:79], v72
	v_add_f64 v[15:16], v[15:16], -v[64:65]
	v_cndmask_b32_e64 v14, v14, v69, s[2:3]
	v_add_f64 v[62:63], s[26:27], v[62:63]
	v_cndmask_b32_e64 v13, v13, v68, s[2:3]
	v_cndmask_b32_e32 v73, v73, v84, vcc
	v_cndmask_b32_e32 v72, v72, v83, vcc
	v_div_scale_f64 v[80:81], s[8:9], v[35:36], v[35:36], v[72:73]
	v_div_scale_f64 v[78:79], s[8:9], v[62:63], v[62:63], v[76:77]
	;; [unrolled: 1-line block ×3, first 2 shown]
	v_rcp_f64_e32 v[84:85], v[80:81]
	v_rcp_f64_e32 v[82:83], v[78:79]
	v_fma_f64 v[88:89], -v[80:81], v[84:85], 1.0
	v_fma_f64 v[86:87], -v[78:79], v[82:83], 1.0
	v_fma_f64 v[84:85], v[84:85], v[88:89], v[84:85]
	v_fma_f64 v[82:83], v[82:83], v[86:87], v[82:83]
	v_div_scale_f64 v[86:87], vcc, v[76:77], v[62:63], v[76:77]
	v_fma_f64 v[92:93], -v[80:81], v[84:85], 1.0
	v_fma_f64 v[88:89], -v[78:79], v[82:83], 1.0
	v_fma_f64 v[84:85], v[84:85], v[92:93], v[84:85]
	v_fma_f64 v[82:83], v[82:83], v[88:89], v[82:83]
	v_mul_f64 v[92:93], v[90:91], v[84:85]
	v_mul_f64 v[88:89], v[86:87], v[82:83]
	v_fma_f64 v[80:81], -v[80:81], v[92:93], v[90:91]
	v_fma_f64 v[78:79], -v[78:79], v[88:89], v[86:87]
	v_div_fmas_f64 v[78:79], v[78:79], v[82:83], v[88:89]
	s_mov_b64 vcc, s[8:9]
	v_div_fmas_f64 v[80:81], v[80:81], v[84:85], v[92:93]
	v_div_fixup_f64 v[66:67], v[80:81], v[35:36], v[72:73]
	v_mul_f64 v[72:73], v[43:44], v[19:20]
	v_add_f64 v[66:67], s[26:27], v[66:67]
	v_div_scale_f64 v[80:81], s[8:9], v[66:67], v[66:67], v[72:73]
	v_div_scale_f64 v[86:87], vcc, v[72:73], v[66:67], v[72:73]
	v_rcp_f64_e32 v[82:83], v[80:81]
	v_fma_f64 v[84:85], -v[80:81], v[82:83], 1.0
	v_fma_f64 v[82:83], v[82:83], v[84:85], v[82:83]
	v_fma_f64 v[84:85], -v[80:81], v[82:83], 1.0
	v_fma_f64 v[82:83], v[82:83], v[84:85], v[82:83]
	v_mul_f64 v[84:85], v[86:87], v[82:83]
	v_fma_f64 v[80:81], -v[80:81], v[84:85], v[86:87]
	v_fma_f64 v[86:87], -v[41:42], v[9:10], v[9:10]
	v_div_fmas_f64 v[80:81], v[80:81], v[82:83], v[84:85]
	v_cndmask_b32_e64 v10, v10, v87, s[2:3]
	v_cndmask_b32_e64 v9, v9, v86, s[2:3]
	v_add_f64 v[9:10], v[9:10], -v[55:56]
	v_div_fixup_f64 v[55:56], v[78:79], v[62:63], v[76:77]
	v_fma_f64 v[62:63], -v[41:42], v[11:12], v[11:12]
	s_and_b64 vcc, exec, s[6:7]
	v_add_f64 v[13:14], v[13:14], -v[55:56]
	v_cndmask_b32_e64 v12, v12, v63, s[2:3]
	v_cndmask_b32_e64 v11, v11, v62, s[2:3]
	v_div_fixup_f64 v[66:67], v[80:81], v[66:67], v[72:73]
	global_store_dwordx4 v[53:54], v[13:16], off
	v_add_f64 v[11:12], v[11:12], -v[66:67]
	global_store_dwordx4 v[53:54], v[9:12], off offset:16
	s_cbranch_vccnz .LBB1_8
; %bb.18:                               ;   in Loop: Header=BB1_9 Depth=1
	global_store_dwordx4 v[51:52], v[5:8], off
	global_store_dwordx4 v[51:52], v[1:4], off offset:16
	s_branch .LBB1_8
.LBB1_19:
	s_or_b64 exec, exec, s[38:39]
	s_mov_b64 s[2:3], 0
.LBB1_20:
	s_andn2_b64 vcc, exec, s[2:3]
	s_cbranch_vccnz .LBB1_82
; %bb.21:
	v_cmp_lt_i64_e64 s[2:3], s[36:37], 1
	s_and_b64 vcc, exec, s[2:3]
	s_cbranch_vccnz .LBB1_82
; %bb.22:
	v_div_scale_f64 v[5:6], s[2:3], v[37:38], v[37:38], v[33:34]
	v_lshlrev_b32_e32 v1, 3, v0
	s_load_dword s8, s[4:5], 0xd64
	v_mov_b32_e32 v15, s35
	v_add_co_u32_e64 v41, s[4:5], s34, v1
	v_addc_co_u32_e64 v42, s[4:5], 0, v15, s[4:5]
	v_mov_b32_e32 v16, s31
	v_add_co_u32_e64 v43, s[4:5], s30, v1
	v_addc_co_u32_e64 v44, s[4:5], 0, v16, s[4:5]
	v_mov_b32_e32 v7, 0x10000
	v_mov_b32_e32 v17, s23
	v_rcp_f64_e32 v[9:10], v[5:6]
	v_add_co_u32_e64 v45, s[4:5], s22, v1
	v_mov_b32_e32 v8, 0
	v_addc_co_u32_e64 v46, s[4:5], 0, v17, s[4:5]
	v_div_scale_f64 v[11:12], vcc, v[33:34], v[37:38], v[33:34]
	v_cmp_lt_i64_e64 s[4:5], s[36:37], v[7:8]
	v_cmp_lt_u64_e64 s[6:7], s[36:37], v[7:8]
	s_and_b64 s[4:5], s[4:5], exec
	v_mov_b32_e32 v2, 0
	v_cmp_neq_f64_e64 s[2:3], s[24:25], 0
	v_mul_f64 v[3:4], s[24:25], v[33:34]
	s_cselect_b32 s25, s37, 0
	s_cselect_b32 s24, s36, 0x10000
	v_fma_f64 v[13:14], -v[5:6], v[9:10], 1.0
	s_waitcnt lgkmcnt(0)
	s_and_b32 s8, s8, 0xffff
	s_and_b64 s[4:5], s[6:7], exec
	v_mov_b32_e32 v19, s35
	v_mov_b32_e32 v20, s31
	s_cselect_b32 s37, s37, 0
	s_cselect_b32 s36, s36, 0x10000
	s_lshl_b32 s7, s8, 1
	v_fma_f64 v[9:10], v[9:10], v[13:14], v[9:10]
	v_mad_u64_u32 v[13:14], s[4:5], s8, 24, v[1:2]
	v_mov_b32_e32 v21, s23
	s_cmp_lg_u64 s[20:21], 0
	v_add_co_u32_e64 v47, s[4:5], s34, v13
	v_addc_co_u32_e64 v48, s[4:5], v19, v14, s[4:5]
	v_fma_f64 v[7:8], -v[5:6], v[9:10], 1.0
	v_add_co_u32_e64 v49, s[4:5], s30, v13
	v_addc_co_u32_e64 v50, s[4:5], v20, v14, s[4:5]
	v_add_co_u32_e64 v51, s[4:5], s22, v13
	s_cselect_b64 s[38:39], -1, 0
	v_fma_f64 v[7:8], v[9:10], v[7:8], v[9:10]
	s_lshl_b32 s9, s8, 4
	v_addc_co_u32_e64 v52, s[4:5], v21, v14, s[4:5]
	v_mov_b32_e32 v22, s13
	v_add_co_u32_e64 v53, s[4:5], s12, v13
	v_mov_b32_e32 v23, s35
	v_mul_f64 v[9:10], v[11:12], v[7:8]
	v_addc_co_u32_e64 v54, s[4:5], v22, v14, s[4:5]
	v_mov_b32_e32 v24, s31
	v_mov_b32_e32 v25, s23
	;; [unrolled: 1-line block ×4, first 2 shown]
	s_mul_i32 s6, s8, 3
	v_fma_f64 v[5:6], -v[5:6], v[9:10], v[11:12]
	s_mov_b64 s[28:29], 0
	s_lshl_b32 s33, s8, 2
	s_lshl_b32 s40, s8, 5
	v_mov_b32_e32 v78, 0x260
	v_mov_b32_e32 v79, 0x100
	;; [unrolled: 1-line block ×3, first 2 shown]
	v_div_fmas_f64 v[5:6], v[5:6], v[7:8], v[9:10]
	v_add_co_u32_e32 v7, vcc, s9, v1
	v_addc_co_u32_e64 v8, s[4:5], 0, 0, vcc
	v_add_co_u32_e32 v55, vcc, s34, v7
	v_addc_co_u32_e32 v56, vcc, v23, v8, vcc
	v_add_co_u32_e32 v57, vcc, s30, v7
	v_addc_co_u32_e32 v58, vcc, v24, v8, vcc
	;; [unrolled: 2-line block ×5, first 2 shown]
	v_add_co_u32_e32 v64, vcc, s8, v0
	v_lshlrev_b32_e32 v7, 3, v64
	v_addc_co_u32_e64 v65, s[4:5], 0, 0, vcc
	v_mov_b32_e32 v8, s35
	v_add_co_u32_e32 v66, vcc, s34, v7
	v_addc_co_u32_e32 v67, vcc, 0, v8, vcc
	v_mov_b32_e32 v8, s31
	v_add_co_u32_e32 v68, vcc, s30, v7
	v_div_fixup_f64 v[5:6], v[5:6], v[37:38], v[33:34]
	v_addc_co_u32_e32 v69, vcc, 0, v8, vcc
	v_mov_b32_e32 v8, s23
	v_add_co_u32_e32 v70, vcc, s22, v7
	v_addc_co_u32_e32 v71, vcc, 0, v8, vcc
	v_mov_b32_e32 v8, s13
	v_add_co_u32_e32 v72, vcc, s12, v7
	v_addc_co_u32_e32 v73, vcc, 0, v8, vcc
	v_add_co_u32_e32 v74, vcc, s6, v0
	s_mov_b32 s22, 0
	v_addc_co_u32_e64 v75, s[4:5], 0, 0, vcc
	v_add_co_u32_e32 v76, vcc, s7, v0
	s_brev_b32 s23, 8
	v_addc_co_u32_e64 v77, s[4:5], 0, 0, vcc
	s_branch .LBB1_24
.LBB1_23:                               ;   in Loop: Header=BB1_24 Depth=1
	s_or_b64 exec, exec, s[4:5]
	v_add_co_u32_e32 v41, vcc, s40, v41
	v_addc_co_u32_e32 v42, vcc, 0, v42, vcc
	v_add_co_u32_e32 v43, vcc, s40, v43
	v_addc_co_u32_e32 v44, vcc, 0, v44, vcc
	;; [unrolled: 2-line block ×14, first 2 shown]
	s_add_u32 s28, s28, s33
	v_add_co_u32_e32 v70, vcc, s40, v70
	v_mov_b32_e32 v7, s24
	s_addc_u32 s29, s29, 0
	v_addc_co_u32_e32 v71, vcc, 0, v71, vcc
	v_mov_b32_e32 v8, s25
	v_cmp_ge_i64_e32 vcc, s[28:29], v[7:8]
	v_add_co_u32_e64 v72, s[4:5], s40, v72
	v_addc_co_u32_e64 v73, s[4:5], 0, v73, s[4:5]
	s_cbranch_vccnz .LBB1_82
.LBB1_24:                               ; =>This Inner Loop Header: Depth=1
	v_mov_b32_e32 v8, s29
	v_add_co_u32_e32 v7, vcc, s28, v0
	v_addc_co_u32_e32 v8, vcc, 0, v8, vcc
	v_cmp_gt_u64_e64 s[4:5], s[36:37], v[7:8]
	v_mov_b32_e32 v17, 0
	v_mov_b32_e32 v7, 0
	;; [unrolled: 1-line block ×6, first 2 shown]
	s_and_saveexec_b64 s[6:7], s[4:5]
	s_cbranch_execz .LBB1_26
; %bb.25:                               ;   in Loop: Header=BB1_24 Depth=1
	v_mov_b32_e32 v7, s15
	v_add_co_u32_e32 v9, vcc, s14, v43
	v_addc_co_u32_e32 v10, vcc, v44, v7, vcc
	v_add_co_u32_e32 v11, vcc, s14, v41
	v_addc_co_u32_e32 v12, vcc, v42, v7, vcc
	global_load_dwordx2 v[27:28], v[11:12], off
	global_load_dwordx2 v[7:8], v[9:10], off
.LBB1_26:                               ;   in Loop: Header=BB1_24 Depth=1
	s_or_b64 exec, exec, s[6:7]
	v_mov_b32_e32 v23, 0
	v_mov_b32_e32 v24, 0
	s_and_saveexec_b64 s[6:7], s[4:5]
	s_cbranch_execz .LBB1_28
; %bb.27:                               ;   in Loop: Header=BB1_24 Depth=1
	v_mov_b32_e32 v12, s15
	v_add_co_u32_e32 v9, vcc, s14, v1
	v_addc_co_u32_e32 v10, vcc, v63, v12, vcc
	v_add_co_u32_e32 v11, vcc, s14, v45
	v_addc_co_u32_e32 v12, vcc, v46, v12, vcc
	global_load_dwordx2 v[23:24], v[11:12], off
	global_load_dwordx2 v[17:18], v[9:10], off
.LBB1_28:                               ;   in Loop: Header=BB1_24 Depth=1
	s_or_b64 exec, exec, s[6:7]
	v_mov_b32_e32 v10, s29
	v_add_co_u32_e32 v9, vcc, s28, v64
	v_addc_co_u32_e32 v10, vcc, v65, v10, vcc
	v_cmp_gt_u64_e64 s[6:7], s[36:37], v[9:10]
	v_mov_b32_e32 v33, 0
	v_mov_b32_e32 v9, 0
	v_mov_b32_e32 v21, 0
	v_mov_b32_e32 v34, 0
	v_mov_b32_e32 v10, 0
	v_mov_b32_e32 v22, 0
	s_and_saveexec_b64 s[8:9], s[6:7]
	s_cbranch_execz .LBB1_30
; %bb.29:                               ;   in Loop: Header=BB1_24 Depth=1
	v_mov_b32_e32 v12, s15
	v_add_co_u32_e32 v9, vcc, s14, v68
	v_addc_co_u32_e32 v10, vcc, v69, v12, vcc
	v_add_co_u32_e32 v11, vcc, s14, v66
	v_addc_co_u32_e32 v12, vcc, v67, v12, vcc
	global_load_dwordx2 v[21:22], v[11:12], off
	s_nop 0
	global_load_dwordx2 v[9:10], v[9:10], off
.LBB1_30:                               ;   in Loop: Header=BB1_24 Depth=1
	s_or_b64 exec, exec, s[8:9]
	v_mov_b32_e32 v39, 0
	v_mov_b32_e32 v40, 0
	s_and_saveexec_b64 s[8:9], s[6:7]
	s_cbranch_execz .LBB1_32
; %bb.31:                               ;   in Loop: Header=BB1_24 Depth=1
	v_mov_b32_e32 v14, s15
	v_add_co_u32_e32 v11, vcc, s14, v72
	v_addc_co_u32_e32 v12, vcc, v73, v14, vcc
	v_add_co_u32_e32 v13, vcc, s14, v70
	v_addc_co_u32_e32 v14, vcc, v71, v14, vcc
	global_load_dwordx2 v[39:40], v[13:14], off
	global_load_dwordx2 v[33:34], v[11:12], off
.LBB1_32:                               ;   in Loop: Header=BB1_24 Depth=1
	s_or_b64 exec, exec, s[8:9]
	v_mov_b32_e32 v12, s29
	v_add_co_u32_e32 v11, vcc, s28, v76
	v_addc_co_u32_e32 v12, vcc, v77, v12, vcc
	v_cmp_gt_u64_e64 s[8:9], s[36:37], v[11:12]
	v_mov_b32_e32 v29, 0
	v_mov_b32_e32 v11, 0
	v_mov_b32_e32 v19, 0
	v_mov_b32_e32 v30, 0
	v_mov_b32_e32 v12, 0
	v_mov_b32_e32 v20, 0
	s_and_saveexec_b64 s[10:11], s[8:9]
	s_cbranch_execz .LBB1_34
; %bb.33:                               ;   in Loop: Header=BB1_24 Depth=1
	v_mov_b32_e32 v14, s15
	v_add_co_u32_e32 v11, vcc, s14, v57
	v_addc_co_u32_e32 v12, vcc, v58, v14, vcc
	v_add_co_u32_e32 v13, vcc, s14, v55
	v_addc_co_u32_e32 v14, vcc, v56, v14, vcc
	global_load_dwordx2 v[19:20], v[13:14], off
	s_nop 0
	global_load_dwordx2 v[11:12], v[11:12], off
.LBB1_34:                               ;   in Loop: Header=BB1_24 Depth=1
	s_or_b64 exec, exec, s[10:11]
	v_mov_b32_e32 v37, 0
	v_mov_b32_e32 v38, 0
	s_and_saveexec_b64 s[10:11], s[8:9]
	s_cbranch_execz .LBB1_36
; %bb.35:                               ;   in Loop: Header=BB1_24 Depth=1
	v_mov_b32_e32 v16, s15
	v_add_co_u32_e32 v13, vcc, s14, v61
	v_addc_co_u32_e32 v14, vcc, v62, v16, vcc
	v_add_co_u32_e32 v15, vcc, s14, v59
	v_addc_co_u32_e32 v16, vcc, v60, v16, vcc
	global_load_dwordx2 v[37:38], v[15:16], off
	global_load_dwordx2 v[29:30], v[13:14], off
.LBB1_36:                               ;   in Loop: Header=BB1_24 Depth=1
	s_or_b64 exec, exec, s[10:11]
	v_mov_b32_e32 v14, s29
	v_add_co_u32_e32 v13, vcc, s28, v74
	v_addc_co_u32_e32 v14, vcc, v75, v14, vcc
	v_cmp_gt_u64_e64 s[10:11], s[36:37], v[13:14]
	v_mov_b32_e32 v25, 0
	v_mov_b32_e32 v13, 0
	v_mov_b32_e32 v15, 0
	v_mov_b32_e32 v26, 0
	v_mov_b32_e32 v14, 0
	v_mov_b32_e32 v16, 0
	s_and_saveexec_b64 s[12:13], s[10:11]
	s_cbranch_execz .LBB1_38
; %bb.37:                               ;   in Loop: Header=BB1_24 Depth=1
	v_mov_b32_e32 v16, s15
	v_add_co_u32_e32 v13, vcc, s14, v49
	v_addc_co_u32_e32 v14, vcc, v50, v16, vcc
	v_add_co_u32_e32 v15, vcc, s14, v47
	v_addc_co_u32_e32 v16, vcc, v48, v16, vcc
	global_load_dwordx2 v[15:16], v[15:16], off
	s_nop 0
	global_load_dwordx2 v[13:14], v[13:14], off
.LBB1_38:                               ;   in Loop: Header=BB1_24 Depth=1
	s_or_b64 exec, exec, s[12:13]
	v_mov_b32_e32 v31, 0
	v_mov_b32_e32 v32, 0
	s_and_saveexec_b64 s[12:13], s[10:11]
	s_cbranch_execz .LBB1_40
; %bb.39:                               ;   in Loop: Header=BB1_24 Depth=1
	v_mov_b32_e32 v32, s15
	v_add_co_u32_e32 v25, vcc, s14, v53
	v_addc_co_u32_e32 v26, vcc, v54, v32, vcc
	v_add_co_u32_e32 v31, vcc, s14, v51
	v_addc_co_u32_e32 v32, vcc, v52, v32, vcc
	global_load_dwordx2 v[31:32], v[31:32], off
	s_nop 0
	global_load_dwordx2 v[25:26], v[25:26], off
.LBB1_40:                               ;   in Loop: Header=BB1_24 Depth=1
	s_or_b64 exec, exec, s[12:13]
	v_cndmask_b32_e64 v81, 0, 1, s[38:39]
	v_cmp_ne_u32_e64 s[12:13], 1, v81
	s_andn2_b64 vcc, exec, s[38:39]
	s_cbranch_vccnz .LBB1_42
; %bb.41:                               ;   in Loop: Header=BB1_24 Depth=1
	global_load_dword v81, v2, s[20:21]
	s_waitcnt vmcnt(0)
	v_cvt_f64_f32_e32 v[81:82], v81
	v_div_scale_f64 v[83:84], s[30:31], v[81:82], v[81:82], v[7:8]
	v_div_scale_f64 v[89:90], vcc, v[7:8], v[81:82], v[7:8]
	v_rcp_f64_e32 v[85:86], v[83:84]
	v_fma_f64 v[87:88], -v[83:84], v[85:86], 1.0
	v_fma_f64 v[85:86], v[85:86], v[87:88], v[85:86]
	v_fma_f64 v[87:88], -v[83:84], v[85:86], 1.0
	v_fma_f64 v[85:86], v[85:86], v[87:88], v[85:86]
	v_mul_f64 v[87:88], v[89:90], v[85:86]
	v_fma_f64 v[83:84], -v[83:84], v[87:88], v[89:90]
	v_div_fmas_f64 v[83:84], v[83:84], v[85:86], v[87:88]
	v_div_fixup_f64 v[7:8], v[83:84], v[81:82], v[7:8]
.LBB1_42:                               ;   in Loop: Header=BB1_24 Depth=1
	s_and_b64 vcc, exec, s[12:13]
	s_cbranch_vccnz .LBB1_44
; %bb.43:                               ;   in Loop: Header=BB1_24 Depth=1
	global_load_dword v81, v2, s[20:21]
	s_waitcnt vmcnt(0)
	v_cvt_f64_f32_e32 v[81:82], v81
	v_div_scale_f64 v[83:84], s[30:31], v[81:82], v[81:82], v[9:10]
	v_div_scale_f64 v[89:90], vcc, v[9:10], v[81:82], v[9:10]
	v_rcp_f64_e32 v[85:86], v[83:84]
	v_fma_f64 v[87:88], -v[83:84], v[85:86], 1.0
	v_fma_f64 v[85:86], v[85:86], v[87:88], v[85:86]
	v_fma_f64 v[87:88], -v[83:84], v[85:86], 1.0
	v_fma_f64 v[85:86], v[85:86], v[87:88], v[85:86]
	v_mul_f64 v[87:88], v[89:90], v[85:86]
	v_fma_f64 v[83:84], -v[83:84], v[87:88], v[89:90]
	v_div_fmas_f64 v[83:84], v[83:84], v[85:86], v[87:88]
	v_div_fixup_f64 v[9:10], v[83:84], v[81:82], v[9:10]
.LBB1_44:                               ;   in Loop: Header=BB1_24 Depth=1
	s_and_b64 vcc, exec, s[12:13]
	;; [unrolled: 18-line block ×3, first 2 shown]
	s_cbranch_vccnz .LBB1_48
; %bb.47:                               ;   in Loop: Header=BB1_24 Depth=1
	global_load_dword v81, v2, s[20:21]
	s_waitcnt vmcnt(0)
	v_cvt_f64_f32_e32 v[81:82], v81
	v_div_scale_f64 v[83:84], s[30:31], v[81:82], v[81:82], v[13:14]
	v_div_scale_f64 v[89:90], vcc, v[13:14], v[81:82], v[13:14]
	v_rcp_f64_e32 v[85:86], v[83:84]
	v_fma_f64 v[87:88], -v[83:84], v[85:86], 1.0
	v_fma_f64 v[85:86], v[85:86], v[87:88], v[85:86]
	v_fma_f64 v[87:88], -v[83:84], v[85:86], 1.0
	v_fma_f64 v[85:86], v[85:86], v[87:88], v[85:86]
	v_mul_f64 v[87:88], v[89:90], v[85:86]
	v_fma_f64 v[83:84], -v[83:84], v[87:88], v[89:90]
	v_div_fmas_f64 v[83:84], v[83:84], v[85:86], v[87:88]
	v_div_fixup_f64 v[13:14], v[83:84], v[81:82], v[13:14]
.LBB1_48:                               ;   in Loop: Header=BB1_24 Depth=1
	s_waitcnt vmcnt(0)
	v_xor_b32_e32 v81, 0x80000000, v8
	v_cndmask_b32_e64 v82, v8, v81, s[0:1]
	v_mov_b32_e32 v81, v7
	v_mul_f64 v[83:84], v[81:82], v[81:82]
	v_fma_f64 v[81:82], -s[16:17], v[81:82], v[81:82]
	v_fma_f64 v[83:84], -s[18:19], v[83:84], v[83:84]
	v_fma_f64 v[23:24], s[16:17], v[23:24], v[81:82]
	v_fma_f64 v[17:18], s[18:19], v[17:18], v[83:84]
	s_and_saveexec_b64 s[30:31], s[4:5]
	s_cbranch_execz .LBB1_50
; %bb.49:                               ;   in Loop: Header=BB1_24 Depth=1
	v_cmp_gt_f64_e32 vcc, s[22:23], v[17:18]
	v_cndmask_b32_e32 v81, 0, v79, vcc
	v_ldexp_f64 v[81:82], v[17:18], v81
	v_rsq_f64_e32 v[83:84], v[81:82]
	v_mul_f64 v[85:86], v[81:82], v[83:84]
	v_mul_f64 v[83:84], v[83:84], 0.5
	v_fma_f64 v[87:88], -v[83:84], v[85:86], 0.5
	v_fma_f64 v[85:86], v[85:86], v[87:88], v[85:86]
	v_fma_f64 v[83:84], v[83:84], v[87:88], v[83:84]
	v_fma_f64 v[87:88], -v[85:86], v[85:86], v[81:82]
	v_fma_f64 v[85:86], v[87:88], v[83:84], v[85:86]
	v_fma_f64 v[87:88], -v[85:86], v[85:86], v[81:82]
	v_fma_f64 v[83:84], v[87:88], v[83:84], v[85:86]
	v_cndmask_b32_e32 v85, 0, v80, vcc
	v_cmp_class_f64_e32 vcc, v[81:82], v78
	v_ldexp_f64 v[83:84], v[83:84], v85
	v_cndmask_b32_e32 v82, v84, v82, vcc
	v_cndmask_b32_e32 v81, v83, v81, vcc
	v_div_scale_f64 v[83:84], s[34:35], v[35:36], v[35:36], v[81:82]
	v_rcp_f64_e32 v[85:86], v[83:84]
	v_fma_f64 v[87:88], -v[83:84], v[85:86], 1.0
	v_fma_f64 v[85:86], v[85:86], v[87:88], v[85:86]
	v_div_scale_f64 v[87:88], vcc, v[81:82], v[35:36], v[81:82]
	v_fma_f64 v[89:90], -v[83:84], v[85:86], 1.0
	v_fma_f64 v[85:86], v[85:86], v[89:90], v[85:86]
	v_mul_f64 v[89:90], v[87:88], v[85:86]
	v_fma_f64 v[83:84], -v[83:84], v[89:90], v[87:88]
	v_div_fmas_f64 v[83:84], v[83:84], v[85:86], v[89:90]
	v_div_fixup_f64 v[81:82], v[83:84], v[35:36], v[81:82]
	v_mul_f64 v[83:84], v[5:6], v[23:24]
	v_add_f64 v[81:82], s[26:27], v[81:82]
	v_div_scale_f64 v[85:86], s[34:35], v[81:82], v[81:82], v[83:84]
	v_div_scale_f64 v[91:92], vcc, v[83:84], v[81:82], v[83:84]
	v_rcp_f64_e32 v[87:88], v[85:86]
	v_fma_f64 v[89:90], -v[85:86], v[87:88], 1.0
	v_fma_f64 v[87:88], v[87:88], v[89:90], v[87:88]
	v_fma_f64 v[89:90], -v[85:86], v[87:88], 1.0
	v_fma_f64 v[87:88], v[87:88], v[89:90], v[87:88]
	v_mul_f64 v[89:90], v[91:92], v[87:88]
	v_fma_f64 v[85:86], -v[85:86], v[89:90], v[91:92]
	v_div_fmas_f64 v[85:86], v[85:86], v[87:88], v[89:90]
	v_fma_f64 v[87:88], -v[3:4], v[27:28], v[27:28]
	v_cndmask_b32_e64 v28, v28, v88, s[2:3]
	v_cndmask_b32_e64 v27, v27, v87, s[2:3]
	v_div_fixup_f64 v[81:82], v[85:86], v[81:82], v[83:84]
	v_add_f64 v[27:28], v[27:28], -v[81:82]
	v_mov_b32_e32 v82, s15
	v_add_co_u32_e32 v81, vcc, s14, v41
	v_addc_co_u32_e32 v82, vcc, v42, v82, vcc
	global_store_dwordx2 v[81:82], v[27:28], off
.LBB1_50:                               ;   in Loop: Header=BB1_24 Depth=1
	s_or_b64 exec, exec, s[30:31]
	v_xor_b32_e32 v27, 0x80000000, v10
	v_cndmask_b32_e64 v28, v10, v27, s[0:1]
	v_mov_b32_e32 v27, v9
	v_mul_f64 v[81:82], v[27:28], v[27:28]
	v_fma_f64 v[27:28], -s[16:17], v[27:28], v[27:28]
	v_fma_f64 v[81:82], -s[18:19], v[81:82], v[81:82]
	v_fma_f64 v[39:40], s[16:17], v[39:40], v[27:28]
	v_fma_f64 v[27:28], s[18:19], v[33:34], v[81:82]
	s_and_saveexec_b64 s[30:31], s[6:7]
	s_cbranch_execz .LBB1_52
; %bb.51:                               ;   in Loop: Header=BB1_24 Depth=1
	v_cmp_gt_f64_e32 vcc, s[22:23], v[27:28]
	v_cndmask_b32_e32 v33, 0, v79, vcc
	v_ldexp_f64 v[33:34], v[27:28], v33
	v_rsq_f64_e32 v[81:82], v[33:34]
	v_mul_f64 v[83:84], v[33:34], v[81:82]
	v_mul_f64 v[81:82], v[81:82], 0.5
	v_fma_f64 v[85:86], -v[81:82], v[83:84], 0.5
	v_fma_f64 v[83:84], v[83:84], v[85:86], v[83:84]
	v_fma_f64 v[81:82], v[81:82], v[85:86], v[81:82]
	v_fma_f64 v[85:86], -v[83:84], v[83:84], v[33:34]
	v_fma_f64 v[83:84], v[85:86], v[81:82], v[83:84]
	v_fma_f64 v[85:86], -v[83:84], v[83:84], v[33:34]
	v_fma_f64 v[81:82], v[85:86], v[81:82], v[83:84]
	v_cndmask_b32_e32 v83, 0, v80, vcc
	v_cmp_class_f64_e32 vcc, v[33:34], v78
	v_ldexp_f64 v[81:82], v[81:82], v83
	v_cndmask_b32_e32 v34, v82, v34, vcc
	v_cndmask_b32_e32 v33, v81, v33, vcc
	v_div_scale_f64 v[81:82], s[34:35], v[35:36], v[35:36], v[33:34]
	v_rcp_f64_e32 v[83:84], v[81:82]
	v_fma_f64 v[85:86], -v[81:82], v[83:84], 1.0
	v_fma_f64 v[83:84], v[83:84], v[85:86], v[83:84]
	v_div_scale_f64 v[85:86], vcc, v[33:34], v[35:36], v[33:34]
	v_fma_f64 v[87:88], -v[81:82], v[83:84], 1.0
	v_fma_f64 v[83:84], v[83:84], v[87:88], v[83:84]
	v_mul_f64 v[87:88], v[85:86], v[83:84]
	v_fma_f64 v[81:82], -v[81:82], v[87:88], v[85:86]
	v_div_fmas_f64 v[81:82], v[81:82], v[83:84], v[87:88]
	v_div_fixup_f64 v[33:34], v[81:82], v[35:36], v[33:34]
	v_mul_f64 v[81:82], v[5:6], v[39:40]
	v_add_f64 v[33:34], s[26:27], v[33:34]
	v_div_scale_f64 v[83:84], s[34:35], v[33:34], v[33:34], v[81:82]
	v_div_scale_f64 v[89:90], vcc, v[81:82], v[33:34], v[81:82]
	v_rcp_f64_e32 v[85:86], v[83:84]
	v_fma_f64 v[87:88], -v[83:84], v[85:86], 1.0
	v_fma_f64 v[85:86], v[85:86], v[87:88], v[85:86]
	v_fma_f64 v[87:88], -v[83:84], v[85:86], 1.0
	v_fma_f64 v[85:86], v[85:86], v[87:88], v[85:86]
	v_mul_f64 v[87:88], v[89:90], v[85:86]
	v_fma_f64 v[83:84], -v[83:84], v[87:88], v[89:90]
	v_div_fmas_f64 v[83:84], v[83:84], v[85:86], v[87:88]
	v_fma_f64 v[85:86], -v[3:4], v[21:22], v[21:22]
	v_cndmask_b32_e64 v22, v22, v86, s[2:3]
	v_cndmask_b32_e64 v21, v21, v85, s[2:3]
	v_div_fixup_f64 v[33:34], v[83:84], v[33:34], v[81:82]
	v_add_f64 v[21:22], v[21:22], -v[33:34]
	v_mov_b32_e32 v34, s15
	v_add_co_u32_e32 v33, vcc, s14, v66
	v_addc_co_u32_e32 v34, vcc, v67, v34, vcc
	global_store_dwordx2 v[33:34], v[21:22], off
.LBB1_52:                               ;   in Loop: Header=BB1_24 Depth=1
	s_or_b64 exec, exec, s[30:31]
	;; [unrolled: 63-line block ×4, first 2 shown]
	s_and_b64 vcc, exec, s[12:13]
	s_cbranch_vccnz .LBB1_63
; %bb.57:                               ;   in Loop: Header=BB1_24 Depth=1
	s_and_saveexec_b64 s[12:13], s[4:5]
	s_cbranch_execnz .LBB1_79
; %bb.58:                               ;   in Loop: Header=BB1_24 Depth=1
	s_or_b64 exec, exec, s[12:13]
	s_and_saveexec_b64 s[12:13], s[6:7]
	s_cbranch_execnz .LBB1_80
.LBB1_59:                               ;   in Loop: Header=BB1_24 Depth=1
	s_or_b64 exec, exec, s[12:13]
	s_and_saveexec_b64 s[12:13], s[8:9]
	s_cbranch_execnz .LBB1_81
.LBB1_60:                               ;   in Loop: Header=BB1_24 Depth=1
	s_or_b64 exec, exec, s[12:13]
	s_and_saveexec_b64 s[12:13], s[10:11]
	s_cbranch_execz .LBB1_62
.LBB1_61:                               ;   in Loop: Header=BB1_24 Depth=1
	v_mov_b32_e32 v8, s15
	v_add_co_u32_e32 v7, vcc, s14, v49
	v_addc_co_u32_e32 v8, vcc, v50, v8, vcc
	global_store_dwordx2 v[7:8], v[13:14], off
.LBB1_62:                               ;   in Loop: Header=BB1_24 Depth=1
	s_or_b64 exec, exec, s[12:13]
.LBB1_63:                               ;   in Loop: Header=BB1_24 Depth=1
	s_and_saveexec_b64 s[12:13], s[4:5]
	s_cbranch_execnz .LBB1_71
; %bb.64:                               ;   in Loop: Header=BB1_24 Depth=1
	s_or_b64 exec, exec, s[12:13]
	s_and_saveexec_b64 s[12:13], s[6:7]
	s_cbranch_execnz .LBB1_72
.LBB1_65:                               ;   in Loop: Header=BB1_24 Depth=1
	s_or_b64 exec, exec, s[12:13]
	s_and_saveexec_b64 s[12:13], s[8:9]
	s_cbranch_execnz .LBB1_73
.LBB1_66:                               ;   in Loop: Header=BB1_24 Depth=1
	s_or_b64 exec, exec, s[12:13]
	s_and_saveexec_b64 s[12:13], s[10:11]
	s_cbranch_execnz .LBB1_74
.LBB1_67:                               ;   in Loop: Header=BB1_24 Depth=1
	s_or_b64 exec, exec, s[12:13]
	s_and_saveexec_b64 s[12:13], s[4:5]
	s_cbranch_execnz .LBB1_75
.LBB1_68:                               ;   in Loop: Header=BB1_24 Depth=1
	s_or_b64 exec, exec, s[12:13]
	s_and_saveexec_b64 s[4:5], s[6:7]
	s_cbranch_execnz .LBB1_76
.LBB1_69:                               ;   in Loop: Header=BB1_24 Depth=1
	s_or_b64 exec, exec, s[4:5]
	s_and_saveexec_b64 s[4:5], s[8:9]
	s_cbranch_execnz .LBB1_77
.LBB1_70:                               ;   in Loop: Header=BB1_24 Depth=1
	s_or_b64 exec, exec, s[4:5]
	s_and_saveexec_b64 s[4:5], s[10:11]
	s_cbranch_execz .LBB1_23
	s_branch .LBB1_78
.LBB1_71:                               ;   in Loop: Header=BB1_24 Depth=1
	v_mov_b32_e32 v8, s15
	v_add_co_u32_e32 v7, vcc, s14, v45
	v_addc_co_u32_e32 v8, vcc, v46, v8, vcc
	global_store_dwordx2 v[7:8], v[23:24], off
	s_or_b64 exec, exec, s[12:13]
	s_and_saveexec_b64 s[12:13], s[6:7]
	s_cbranch_execz .LBB1_65
.LBB1_72:                               ;   in Loop: Header=BB1_24 Depth=1
	v_mov_b32_e32 v8, s15
	v_add_co_u32_e32 v7, vcc, s14, v70
	v_addc_co_u32_e32 v8, vcc, v71, v8, vcc
	global_store_dwordx2 v[7:8], v[39:40], off
	s_or_b64 exec, exec, s[12:13]
	s_and_saveexec_b64 s[12:13], s[8:9]
	s_cbranch_execz .LBB1_66
.LBB1_73:                               ;   in Loop: Header=BB1_24 Depth=1
	v_mov_b32_e32 v8, s15
	v_add_co_u32_e32 v7, vcc, s14, v59
	v_addc_co_u32_e32 v8, vcc, v60, v8, vcc
	global_store_dwordx2 v[7:8], v[33:34], off
	s_or_b64 exec, exec, s[12:13]
	s_and_saveexec_b64 s[12:13], s[10:11]
	s_cbranch_execz .LBB1_67
.LBB1_74:                               ;   in Loop: Header=BB1_24 Depth=1
	v_mov_b32_e32 v8, s15
	v_add_co_u32_e32 v7, vcc, s14, v51
	v_addc_co_u32_e32 v8, vcc, v52, v8, vcc
	global_store_dwordx2 v[7:8], v[29:30], off
	s_or_b64 exec, exec, s[12:13]
	s_and_saveexec_b64 s[12:13], s[4:5]
	s_cbranch_execz .LBB1_68
.LBB1_75:                               ;   in Loop: Header=BB1_24 Depth=1
	v_mov_b32_e32 v8, s15
	v_add_co_u32_e32 v7, vcc, s14, v1
	v_addc_co_u32_e32 v8, vcc, v63, v8, vcc
	global_store_dwordx2 v[7:8], v[17:18], off
	s_or_b64 exec, exec, s[12:13]
	s_and_saveexec_b64 s[4:5], s[6:7]
	s_cbranch_execz .LBB1_69
.LBB1_76:                               ;   in Loop: Header=BB1_24 Depth=1
	v_mov_b32_e32 v8, s15
	v_add_co_u32_e32 v7, vcc, s14, v72
	v_addc_co_u32_e32 v8, vcc, v73, v8, vcc
	global_store_dwordx2 v[7:8], v[27:28], off
	s_or_b64 exec, exec, s[4:5]
	s_and_saveexec_b64 s[4:5], s[8:9]
	s_cbranch_execz .LBB1_70
.LBB1_77:                               ;   in Loop: Header=BB1_24 Depth=1
	v_mov_b32_e32 v8, s15
	v_add_co_u32_e32 v7, vcc, s14, v61
	v_addc_co_u32_e32 v8, vcc, v62, v8, vcc
	global_store_dwordx2 v[7:8], v[21:22], off
	s_or_b64 exec, exec, s[4:5]
	s_and_saveexec_b64 s[4:5], s[10:11]
	s_cbranch_execz .LBB1_23
.LBB1_78:                               ;   in Loop: Header=BB1_24 Depth=1
	v_mov_b32_e32 v8, s15
	v_add_co_u32_e32 v7, vcc, s14, v53
	v_addc_co_u32_e32 v8, vcc, v54, v8, vcc
	global_store_dwordx2 v[7:8], v[19:20], off
	s_branch .LBB1_23
.LBB1_79:                               ;   in Loop: Header=BB1_24 Depth=1
	v_mov_b32_e32 v16, s15
	v_add_co_u32_e32 v15, vcc, s14, v43
	v_addc_co_u32_e32 v16, vcc, v44, v16, vcc
	global_store_dwordx2 v[15:16], v[7:8], off
	s_or_b64 exec, exec, s[12:13]
	s_and_saveexec_b64 s[12:13], s[6:7]
	s_cbranch_execz .LBB1_59
.LBB1_80:                               ;   in Loop: Header=BB1_24 Depth=1
	v_mov_b32_e32 v8, s15
	v_add_co_u32_e32 v7, vcc, s14, v68
	v_addc_co_u32_e32 v8, vcc, v69, v8, vcc
	global_store_dwordx2 v[7:8], v[9:10], off
	s_or_b64 exec, exec, s[12:13]
	s_and_saveexec_b64 s[12:13], s[8:9]
	s_cbranch_execz .LBB1_60
.LBB1_81:                               ;   in Loop: Header=BB1_24 Depth=1
	v_mov_b32_e32 v8, s15
	v_add_co_u32_e32 v7, vcc, s14, v57
	v_addc_co_u32_e32 v8, vcc, v58, v8, vcc
	global_store_dwordx2 v[7:8], v[11:12], off
	s_or_b64 exec, exec, s[12:13]
	s_and_saveexec_b64 s[12:13], s[10:11]
	s_cbranch_execnz .LBB1_61
	s_branch .LBB1_62
.LBB1_82:
	s_endpgm
	.section	.rodata,"a",@progbits
	.p2align	6, 0x0
	.amdhsa_kernel _ZN2at6native12_GLOBAL__N_125multi_tensor_apply_kernelINS1_32FusedOptimizerTensorListMetadataILi4EEENS1_20FusedAdamMathFunctorIdLi4ELNS0_9ADAM_MODEE1ELb0EEEJPKfdddddbS9_S9_EEEvT_T0_DpT1_
		.amdhsa_group_segment_fixed_size 0
		.amdhsa_private_segment_fixed_size 0
		.amdhsa_kernarg_size 3672
		.amdhsa_user_sgpr_count 6
		.amdhsa_user_sgpr_private_segment_buffer 1
		.amdhsa_user_sgpr_dispatch_ptr 0
		.amdhsa_user_sgpr_queue_ptr 0
		.amdhsa_user_sgpr_kernarg_segment_ptr 1
		.amdhsa_user_sgpr_dispatch_id 0
		.amdhsa_user_sgpr_flat_scratch_init 0
		.amdhsa_user_sgpr_private_segment_size 0
		.amdhsa_uses_dynamic_stack 0
		.amdhsa_system_sgpr_private_segment_wavefront_offset 0
		.amdhsa_system_sgpr_workgroup_id_x 1
		.amdhsa_system_sgpr_workgroup_id_y 0
		.amdhsa_system_sgpr_workgroup_id_z 0
		.amdhsa_system_sgpr_workgroup_info 0
		.amdhsa_system_vgpr_workitem_id 0
		.amdhsa_next_free_vgpr 99
		.amdhsa_next_free_sgpr 91
		.amdhsa_reserve_vcc 1
		.amdhsa_reserve_flat_scratch 0
		.amdhsa_float_round_mode_32 0
		.amdhsa_float_round_mode_16_64 0
		.amdhsa_float_denorm_mode_32 3
		.amdhsa_float_denorm_mode_16_64 3
		.amdhsa_dx10_clamp 1
		.amdhsa_ieee_mode 1
		.amdhsa_fp16_overflow 0
		.amdhsa_exception_fp_ieee_invalid_op 0
		.amdhsa_exception_fp_denorm_src 0
		.amdhsa_exception_fp_ieee_div_zero 0
		.amdhsa_exception_fp_ieee_overflow 0
		.amdhsa_exception_fp_ieee_underflow 0
		.amdhsa_exception_fp_ieee_inexact 0
		.amdhsa_exception_int_div_zero 0
	.end_amdhsa_kernel
	.section	.text._ZN2at6native12_GLOBAL__N_125multi_tensor_apply_kernelINS1_32FusedOptimizerTensorListMetadataILi4EEENS1_20FusedAdamMathFunctorIdLi4ELNS0_9ADAM_MODEE1ELb0EEEJPKfdddddbS9_S9_EEEvT_T0_DpT1_,"axG",@progbits,_ZN2at6native12_GLOBAL__N_125multi_tensor_apply_kernelINS1_32FusedOptimizerTensorListMetadataILi4EEENS1_20FusedAdamMathFunctorIdLi4ELNS0_9ADAM_MODEE1ELb0EEEJPKfdddddbS9_S9_EEEvT_T0_DpT1_,comdat
.Lfunc_end1:
	.size	_ZN2at6native12_GLOBAL__N_125multi_tensor_apply_kernelINS1_32FusedOptimizerTensorListMetadataILi4EEENS1_20FusedAdamMathFunctorIdLi4ELNS0_9ADAM_MODEE1ELb0EEEJPKfdddddbS9_S9_EEEvT_T0_DpT1_, .Lfunc_end1-_ZN2at6native12_GLOBAL__N_125multi_tensor_apply_kernelINS1_32FusedOptimizerTensorListMetadataILi4EEENS1_20FusedAdamMathFunctorIdLi4ELNS0_9ADAM_MODEE1ELb0EEEJPKfdddddbS9_S9_EEEvT_T0_DpT1_
                                        ; -- End function
	.set _ZN2at6native12_GLOBAL__N_125multi_tensor_apply_kernelINS1_32FusedOptimizerTensorListMetadataILi4EEENS1_20FusedAdamMathFunctorIdLi4ELNS0_9ADAM_MODEE1ELb0EEEJPKfdddddbS9_S9_EEEvT_T0_DpT1_.num_vgpr, 99
	.set _ZN2at6native12_GLOBAL__N_125multi_tensor_apply_kernelINS1_32FusedOptimizerTensorListMetadataILi4EEENS1_20FusedAdamMathFunctorIdLi4ELNS0_9ADAM_MODEE1ELb0EEEJPKfdddddbS9_S9_EEEvT_T0_DpT1_.num_agpr, 0
	.set _ZN2at6native12_GLOBAL__N_125multi_tensor_apply_kernelINS1_32FusedOptimizerTensorListMetadataILi4EEENS1_20FusedAdamMathFunctorIdLi4ELNS0_9ADAM_MODEE1ELb0EEEJPKfdddddbS9_S9_EEEvT_T0_DpT1_.numbered_sgpr, 91
	.set _ZN2at6native12_GLOBAL__N_125multi_tensor_apply_kernelINS1_32FusedOptimizerTensorListMetadataILi4EEENS1_20FusedAdamMathFunctorIdLi4ELNS0_9ADAM_MODEE1ELb0EEEJPKfdddddbS9_S9_EEEvT_T0_DpT1_.num_named_barrier, 0
	.set _ZN2at6native12_GLOBAL__N_125multi_tensor_apply_kernelINS1_32FusedOptimizerTensorListMetadataILi4EEENS1_20FusedAdamMathFunctorIdLi4ELNS0_9ADAM_MODEE1ELb0EEEJPKfdddddbS9_S9_EEEvT_T0_DpT1_.private_seg_size, 0
	.set _ZN2at6native12_GLOBAL__N_125multi_tensor_apply_kernelINS1_32FusedOptimizerTensorListMetadataILi4EEENS1_20FusedAdamMathFunctorIdLi4ELNS0_9ADAM_MODEE1ELb0EEEJPKfdddddbS9_S9_EEEvT_T0_DpT1_.uses_vcc, 1
	.set _ZN2at6native12_GLOBAL__N_125multi_tensor_apply_kernelINS1_32FusedOptimizerTensorListMetadataILi4EEENS1_20FusedAdamMathFunctorIdLi4ELNS0_9ADAM_MODEE1ELb0EEEJPKfdddddbS9_S9_EEEvT_T0_DpT1_.uses_flat_scratch, 0
	.set _ZN2at6native12_GLOBAL__N_125multi_tensor_apply_kernelINS1_32FusedOptimizerTensorListMetadataILi4EEENS1_20FusedAdamMathFunctorIdLi4ELNS0_9ADAM_MODEE1ELb0EEEJPKfdddddbS9_S9_EEEvT_T0_DpT1_.has_dyn_sized_stack, 0
	.set _ZN2at6native12_GLOBAL__N_125multi_tensor_apply_kernelINS1_32FusedOptimizerTensorListMetadataILi4EEENS1_20FusedAdamMathFunctorIdLi4ELNS0_9ADAM_MODEE1ELb0EEEJPKfdddddbS9_S9_EEEvT_T0_DpT1_.has_recursion, 0
	.set _ZN2at6native12_GLOBAL__N_125multi_tensor_apply_kernelINS1_32FusedOptimizerTensorListMetadataILi4EEENS1_20FusedAdamMathFunctorIdLi4ELNS0_9ADAM_MODEE1ELb0EEEJPKfdddddbS9_S9_EEEvT_T0_DpT1_.has_indirect_call, 0
	.section	.AMDGPU.csdata,"",@progbits
; Kernel info:
; codeLenInByte = 10580
; TotalNumSgprs: 95
; NumVgprs: 99
; ScratchSize: 0
; MemoryBound: 0
; FloatMode: 240
; IeeeMode: 1
; LDSByteSize: 0 bytes/workgroup (compile time only)
; SGPRBlocks: 11
; VGPRBlocks: 24
; NumSGPRsForWavesPerEU: 95
; NumVGPRsForWavesPerEU: 99
; Occupancy: 2
; WaveLimiterHint : 0
; COMPUTE_PGM_RSRC2:SCRATCH_EN: 0
; COMPUTE_PGM_RSRC2:USER_SGPR: 6
; COMPUTE_PGM_RSRC2:TRAP_HANDLER: 0
; COMPUTE_PGM_RSRC2:TGID_X_EN: 1
; COMPUTE_PGM_RSRC2:TGID_Y_EN: 0
; COMPUTE_PGM_RSRC2:TGID_Z_EN: 0
; COMPUTE_PGM_RSRC2:TIDIG_COMP_CNT: 0
	.section	.text._ZN2at6native12_GLOBAL__N_125multi_tensor_apply_kernelINS1_32FusedOptimizerTensorListMetadataILi4EEENS1_20FusedAdamMathFunctorIfLi4ELNS0_9ADAM_MODEE1ELb0EEEJPKfdddddbS9_S9_EEEvT_T0_DpT1_,"axG",@progbits,_ZN2at6native12_GLOBAL__N_125multi_tensor_apply_kernelINS1_32FusedOptimizerTensorListMetadataILi4EEENS1_20FusedAdamMathFunctorIfLi4ELNS0_9ADAM_MODEE1ELb0EEEJPKfdddddbS9_S9_EEEvT_T0_DpT1_,comdat
	.globl	_ZN2at6native12_GLOBAL__N_125multi_tensor_apply_kernelINS1_32FusedOptimizerTensorListMetadataILi4EEENS1_20FusedAdamMathFunctorIfLi4ELNS0_9ADAM_MODEE1ELb0EEEJPKfdddddbS9_S9_EEEvT_T0_DpT1_ ; -- Begin function _ZN2at6native12_GLOBAL__N_125multi_tensor_apply_kernelINS1_32FusedOptimizerTensorListMetadataILi4EEENS1_20FusedAdamMathFunctorIfLi4ELNS0_9ADAM_MODEE1ELb0EEEJPKfdddddbS9_S9_EEEvT_T0_DpT1_
	.p2align	8
	.type	_ZN2at6native12_GLOBAL__N_125multi_tensor_apply_kernelINS1_32FusedOptimizerTensorListMetadataILi4EEENS1_20FusedAdamMathFunctorIfLi4ELNS0_9ADAM_MODEE1ELb0EEEJPKfdddddbS9_S9_EEEvT_T0_DpT1_,@function
_ZN2at6native12_GLOBAL__N_125multi_tensor_apply_kernelINS1_32FusedOptimizerTensorListMetadataILi4EEENS1_20FusedAdamMathFunctorIfLi4ELNS0_9ADAM_MODEE1ELb0EEEJPKfdddddbS9_S9_EEEvT_T0_DpT1_: ; @_ZN2at6native12_GLOBAL__N_125multi_tensor_apply_kernelINS1_32FusedOptimizerTensorListMetadataILi4EEENS1_20FusedAdamMathFunctorIfLi4ELNS0_9ADAM_MODEE1ELb0EEEJPKfdddddbS9_S9_EEEvT_T0_DpT1_
; %bb.0:
	v_mov_b32_e32 v1, s6
	global_load_ubyte v1, v1, s[4:5] offset:1728
	s_load_dwordx4 s[20:23], s[4:5], 0xd30
	s_load_dwordx8 s[8:15], s[4:5], 0xd10
	s_add_u32 s0, s4, s6
	s_mul_hi_u32 s1, s6, 3
	s_mul_i32 s6, s6, 3
	s_addc_u32 s2, s5, 0
	s_add_u32 s0, s0, s6
	s_addc_u32 s1, s2, s1
	s_waitcnt lgkmcnt(0)
	s_cmp_eq_u64 s[8:9], 0
	s_mov_b64 s[2:3], 0
	s_waitcnt vmcnt(0)
	v_readfirstlane_b32 s6, v1
	s_cbranch_scc1 .LBB2_20
; %bb.1:
	s_load_dword s7, s[8:9], 0x0
	s_andn2_b64 vcc, exec, s[2:3]
	s_waitcnt lgkmcnt(0)
	v_mov_b32_e32 v35, s7
	s_cbranch_vccnz .LBB2_3
.LBB2_2:
	v_cvt_f32_f64_e32 v35, s[10:11]
.LBB2_3:
	s_load_dwordx4 s[16:19], s[4:5], 0xd48
	s_waitcnt lgkmcnt(0)
	s_cmp_eq_u64 s[18:19], 0
	s_cselect_b64 s[2:3], -1, 0
	s_and_b64 vcc, exec, s[2:3]
	s_cbranch_vccnz .LBB2_5
; %bb.4:
	s_load_dword s2, s[18:19], 0x0
	s_waitcnt lgkmcnt(0)
	v_cmp_neq_f32_e64 s[2:3], s2, 1.0
.LBB2_5:
	s_andn2_b64 vcc, exec, s[2:3]
	s_cbranch_vccnz .LBB2_84
; %bb.6:
	s_load_dword s2, s[4:5], 0xd40
	v_cvt_f32_f64_e32 v31, s[12:13]
	s_mov_b32 s11, 0x3f2aaaab
	v_mov_b32_e32 v11, 0x3ecccdef
	v_cvt_f32_f64_e32 v32, s[14:15]
	s_waitcnt lgkmcnt(0)
	s_bitcmp1_b32 s2, 0
	s_cselect_b64 s[18:19], -1, 0
	s_and_b32 s2, s6, 0xff
	s_lshl_b32 s24, s2, 3
	s_load_dwordx2 s[2:3], s[4:5], s24 offset:0x5a0
	s_load_dword s10, s[0:1], 0x800
	s_load_dwordx2 s[6:7], s[4:5], s24 offset:0x480
	v_cmp_neq_f32_e32 vcc, 1.0, v31
	s_mov_b32 s14, 0x3f317218
	s_waitcnt lgkmcnt(0)
	s_load_dword s0, s[2:3], 0x0
	s_movk_i32 s8, 0x204
	s_mov_b32 s9, 0x42b17218
	s_mov_b32 s25, 0x3fb8aa3b
	;; [unrolled: 1-line block ×3, first 2 shown]
	s_waitcnt lgkmcnt(0)
	v_mov_b32_e32 v5, s0
	v_cndmask_b32_e32 v1, 1.0, v5, vcc
	v_cmp_neq_f32_e32 vcc, 0, v1
	v_cndmask_b32_e32 v2, 1.0, v31, vcc
	v_frexp_mant_f32_e64 v3, |v2|
	v_cmp_gt_f32_e32 vcc, s11, v3
	v_cndmask_b32_e64 v4, 1.0, 2.0, vcc
	v_mul_f32_e32 v3, v3, v4
	v_add_f32_e32 v4, 1.0, v3
	v_rcp_f32_e32 v6, v4
	v_add_f32_e32 v7, -1.0, v3
	v_add_f32_e32 v8, -1.0, v4
	v_sub_f32_e32 v3, v3, v8
	v_mul_f32_e32 v8, v7, v6
	v_mul_f32_e32 v9, v4, v8
	v_fma_f32 v4, v8, v4, -v9
	v_fmac_f32_e32 v4, v8, v3
	v_add_f32_e32 v3, v9, v4
	v_sub_f32_e32 v10, v7, v3
	v_sub_f32_e32 v9, v3, v9
	;; [unrolled: 1-line block ×5, first 2 shown]
	v_add_f32_e32 v3, v4, v3
	v_add_f32_e32 v3, v10, v3
	v_mul_f32_e32 v3, v6, v3
	v_add_f32_e32 v6, v8, v3
	v_sub_f32_e32 v4, v6, v8
	v_mul_f32_e32 v7, v6, v6
	v_sub_f32_e32 v8, v3, v4
	v_fma_f32 v3, v6, v6, -v7
	v_add_f32_e32 v4, v8, v8
	v_fmac_f32_e32 v3, v6, v4
	v_add_f32_e32 v4, v7, v3
	v_sub_f32_e32 v7, v4, v7
	v_sub_f32_e32 v3, v3, v7
	v_mul_f32_e32 v7, v6, v4
	v_fma_f32 v12, v4, v6, -v7
	v_fmac_f32_e32 v12, v4, v8
	v_mov_b32_e32 v10, 0x3e91f4c4
	v_fmac_f32_e32 v12, v3, v6
	v_fmac_f32_e32 v10, 0x3e76c4e1, v4
	v_add_f32_e32 v13, v7, v12
	v_fma_f32 v10, v4, v10, v11
	v_sub_f32_e32 v7, v13, v7
	v_sub_f32_e32 v7, v12, v7
	v_mul_f32_e32 v12, v4, v10
	v_fma_f32 v4, v4, v10, -v12
	v_fmac_f32_e32 v4, v3, v10
	v_add_f32_e32 v10, v12, v4
	v_sub_f32_e32 v3, v10, v12
	v_sub_f32_e32 v12, v4, v3
	v_cvt_f64_f32_e64 v[3:4], |v2|
	v_add_f32_e32 v14, 0x3f2aaaaa, v10
	v_add_f32_e32 v15, 0xbf2aaaaa, v14
	;; [unrolled: 1-line block ×3, first 2 shown]
	v_frexp_exp_i32_f64_e32 v3, v[3:4]
	v_sub_f32_e32 v10, v10, v15
	v_add_f32_e32 v4, v12, v10
	v_add_f32_e32 v10, v14, v4
	v_sub_f32_e32 v12, v14, v10
	v_add_f32_e32 v4, v4, v12
	v_mul_f32_e32 v12, v13, v10
	v_fma_f32 v14, v13, v10, -v12
	v_subbrev_co_u32_e32 v3, vcc, 0, v3, vcc
	v_cvt_f32_i32_e32 v3, v3
	v_fmac_f32_e32 v14, v13, v4
	v_fmac_f32_e32 v14, v7, v10
	v_ldexp_f32 v6, v6, 1
	v_mul_f32_e32 v4, 0x3f317218, v3
	v_fma_f32 v7, v3, s14, -v4
	v_fmac_f32_e32 v7, 0xb102e308, v3
	v_ldexp_f32 v3, v8, 1
	v_add_f32_e32 v8, v4, v7
	v_sub_f32_e32 v4, v8, v4
	v_sub_f32_e32 v4, v7, v4
	v_add_f32_e32 v7, v12, v14
	v_sub_f32_e32 v10, v7, v12
	v_add_f32_e32 v12, v6, v7
	v_sub_f32_e32 v10, v14, v10
	v_sub_f32_e32 v6, v12, v6
	v_sub_f32_e32 v6, v7, v6
	v_add_f32_e32 v3, v3, v10
	v_add_f32_e32 v3, v3, v6
	;; [unrolled: 1-line block ×3, first 2 shown]
	v_sub_f32_e32 v7, v6, v12
	v_sub_f32_e32 v3, v3, v7
	v_add_f32_e32 v7, v8, v6
	v_sub_f32_e32 v10, v7, v8
	v_sub_f32_e32 v12, v7, v10
	;; [unrolled: 1-line block ×4, first 2 shown]
	v_add_f32_e32 v6, v6, v8
	v_add_f32_e32 v8, v4, v3
	v_sub_f32_e32 v10, v8, v4
	v_sub_f32_e32 v12, v8, v10
	v_sub_f32_e32 v4, v4, v12
	v_sub_f32_e32 v3, v3, v10
	v_add_f32_e32 v3, v3, v4
	v_add_f32_e32 v4, v8, v6
	;; [unrolled: 1-line block ×3, first 2 shown]
	v_sub_f32_e32 v7, v6, v7
	v_sub_f32_e32 v4, v4, v7
	v_add_f32_e32 v3, v3, v4
	v_add_f32_e32 v4, v6, v3
	v_sub_f32_e32 v6, v4, v6
	v_sub_f32_e32 v3, v3, v6
	v_mul_f32_e32 v6, v1, v4
	v_fma_f32 v4, v1, v4, -v6
	v_fmac_f32_e32 v4, v1, v3
	v_add_f32_e32 v3, v6, v4
	v_cmp_class_f32_e64 vcc, v6, s8
	v_sub_f32_e32 v7, v3, v6
	v_cndmask_b32_e32 v3, v3, v6, vcc
	v_mov_b32_e32 v6, 0x37000000
	v_cmp_eq_f32_e32 vcc, s9, v3
	v_sub_f32_e32 v4, v4, v7
	v_cndmask_b32_e32 v7, 0, v6, vcc
	v_sub_f32_e32 v8, v3, v7
	v_mul_f32_e32 v10, 0x3fb8aa3b, v8
	v_fma_f32 v12, v8, s25, -v10
	v_rndne_f32_e32 v13, v10
	v_fmac_f32_e32 v12, 0x32a5705f, v8
	v_sub_f32_e32 v10, v10, v13
	v_add_f32_e32 v10, v10, v12
	v_exp_f32_e32 v10, v10
	v_cvt_i32_f32_e32 v12, v13
	v_cmp_neq_f32_e64 vcc, |v3|, s15
	s_mov_b32 s26, 0xc2ce8ed0
	v_cndmask_b32_e32 v3, 0, v4, vcc
	v_ldexp_f32 v4, v10, v12
	v_cmp_ngt_f32_e32 vcc, s26, v8
	v_add_f32_e32 v3, v7, v3
	v_cndmask_b32_e32 v4, 0, v4, vcc
	v_mov_b32_e32 v7, 0x7f800000
	v_cmp_nlt_f32_e32 vcc, s9, v8
	v_cndmask_b32_e32 v4, v7, v4, vcc
	v_fma_f32 v3, v4, v3, v4
	v_cmp_class_f32_e64 vcc, v4, s8
	v_cndmask_b32_e32 v3, v3, v4, vcc
	v_trunc_f32_e32 v4, v1
	v_cmp_eq_f32_e32 vcc, v4, v1
	v_mul_f32_e32 v4, 0.5, v1
	v_trunc_f32_e32 v10, v4
	v_cmp_neq_f32_e64 s[0:1], v10, v4
	s_and_b64 s[0:1], vcc, s[0:1]
	v_cndmask_b32_e64 v4, 1.0, v2, s[0:1]
	s_brev_b32 s27, -2
	v_mov_b32_e32 v8, 0x7fc00000
	v_bfi_b32 v3, s27, v3, v4
	v_cmp_neq_f32_e64 s[2:3], v1, |v1|
	v_cmp_lt_f32_e64 s[12:13], |v2|, 1.0
	v_cndmask_b32_e32 v4, v8, v3, vcc
	v_cmp_gt_f32_e32 vcc, 0, v2
	s_xor_b64 s[2:3], s[2:3], s[12:13]
	v_cndmask_b32_e32 v3, v3, v4, vcc
	v_cndmask_b32_e64 v4, v7, 0, s[2:3]
	v_cmp_neq_f32_e64 vcc, |v2|, 1.0
	v_cndmask_b32_e32 v4, 1.0, v4, vcc
	v_cmp_class_f32_e64 vcc, v1, s8
	v_cndmask_b32_e32 v3, v3, v4, vcc
	v_cmp_eq_f32_e32 vcc, 0, v2
	v_cmp_gt_f32_e64 s[2:3], 0, v1
	s_xor_b64 s[2:3], s[2:3], vcc
	v_cmp_class_f32_e64 s[12:13], v2, s8
	v_cndmask_b32_e64 v4, v7, 0, s[2:3]
	v_cndmask_b32_e64 v10, 0, v2, s[0:1]
	v_bfi_b32 v4, s27, v4, v10
	s_or_b64 vcc, vcc, s[12:13]
	v_cndmask_b32_e32 v10, v3, v4, vcc
	v_cmp_neq_f32_e32 vcc, 1.0, v32
	v_cndmask_b32_e32 v5, 1.0, v5, vcc
	v_cmp_neq_f32_e32 vcc, 0, v5
	v_cndmask_b32_e32 v12, 1.0, v32, vcc
	v_frexp_mant_f32_e64 v3, |v12|
	v_cmp_gt_f32_e32 vcc, s11, v3
	v_cndmask_b32_e64 v4, 1.0, 2.0, vcc
	v_mul_f32_e32 v3, v3, v4
	v_add_f32_e32 v4, 1.0, v3
	v_rcp_f32_e32 v13, v4
	v_add_f32_e32 v14, -1.0, v3
	v_add_f32_e32 v15, -1.0, v4
	v_sub_f32_e32 v3, v3, v15
	v_mul_f32_e32 v15, v14, v13
	v_mul_f32_e32 v16, v4, v15
	v_fma_f32 v4, v15, v4, -v16
	v_fmac_f32_e32 v4, v15, v3
	v_add_f32_e32 v3, v16, v4
	v_sub_f32_e32 v17, v14, v3
	v_sub_f32_e32 v16, v3, v16
	;; [unrolled: 1-line block ×5, first 2 shown]
	v_add_f32_e32 v3, v4, v3
	v_add_f32_e32 v3, v17, v3
	v_mul_f32_e32 v3, v13, v3
	v_add_f32_e32 v13, v15, v3
	v_sub_f32_e32 v4, v13, v15
	v_sub_f32_e32 v14, v3, v4
	v_mul_f32_e32 v3, v13, v13
	v_fma_f32 v4, v13, v13, -v3
	v_add_f32_e32 v15, v14, v14
	v_fmac_f32_e32 v4, v13, v15
	v_mov_b32_e32 v9, 0x3e91f4c4
	v_add_f32_e32 v15, v3, v4
	v_fmac_f32_e32 v9, 0x3e76c4e1, v15
	v_fmac_f32_e32 v11, v15, v9
	v_sub_f32_e32 v3, v15, v3
	v_mul_f32_e32 v9, v13, v15
	v_sub_f32_e32 v3, v4, v3
	v_fma_f32 v16, v15, v13, -v9
	v_mul_f32_e32 v4, v15, v11
	v_fmac_f32_e32 v16, v15, v14
	v_fma_f32 v15, v15, v11, -v4
	v_fmac_f32_e32 v15, v3, v11
	v_fmac_f32_e32 v16, v3, v13
	v_add_f32_e32 v3, v4, v15
	v_add_f32_e32 v11, 0x3f2aaaaa, v3
	v_sub_f32_e32 v4, v3, v4
	v_sub_f32_e32 v4, v15, v4
	v_add_f32_e32 v15, 0xbf2aaaaa, v11
	v_add_f32_e32 v4, 0x31739010, v4
	v_sub_f32_e32 v3, v3, v15
	v_add_f32_e32 v15, v4, v3
	v_cvt_f64_f32_e64 v[3:4], |v12|
	v_add_f32_e32 v17, v9, v16
	v_add_f32_e32 v18, v11, v15
	v_sub_f32_e32 v11, v11, v18
	v_frexp_exp_i32_f64_e32 v3, v[3:4]
	v_mul_f32_e32 v4, v17, v18
	v_add_f32_e32 v11, v15, v11
	v_fma_f32 v15, v17, v18, -v4
	v_sub_f32_e32 v9, v17, v9
	v_fmac_f32_e32 v15, v17, v11
	v_sub_f32_e32 v9, v16, v9
	v_fmac_f32_e32 v15, v9, v18
	v_subbrev_co_u32_e32 v3, vcc, 0, v3, vcc
	v_cvt_f32_i32_e32 v3, v3
	v_ldexp_f32 v13, v13, 1
	v_cmp_neq_f32_e64 s[2:3], v5, |v5|
	s_ashr_i32 s11, s10, 31
	v_mul_f32_e32 v9, 0x3f317218, v3
	v_fma_f32 v11, v3, s14, -v9
	v_fmac_f32_e32 v11, 0xb102e308, v3
	v_ldexp_f32 v3, v14, 1
	v_add_f32_e32 v14, v9, v11
	v_sub_f32_e32 v9, v14, v9
	v_sub_f32_e32 v9, v11, v9
	v_add_f32_e32 v11, v4, v15
	v_sub_f32_e32 v4, v11, v4
	v_sub_f32_e32 v4, v15, v4
	;; [unrolled: 3-line block ×3, first 2 shown]
	v_add_f32_e32 v3, v3, v4
	v_add_f32_e32 v3, v3, v11
	;; [unrolled: 1-line block ×3, first 2 shown]
	v_sub_f32_e32 v11, v4, v15
	v_sub_f32_e32 v3, v3, v11
	v_add_f32_e32 v11, v14, v4
	v_sub_f32_e32 v13, v11, v14
	v_sub_f32_e32 v15, v11, v13
	;; [unrolled: 1-line block ×4, first 2 shown]
	v_add_f32_e32 v13, v9, v3
	v_add_f32_e32 v4, v4, v14
	v_sub_f32_e32 v14, v13, v9
	v_sub_f32_e32 v15, v13, v14
	;; [unrolled: 1-line block ×4, first 2 shown]
	v_add_f32_e32 v4, v13, v4
	v_add_f32_e32 v3, v3, v9
	;; [unrolled: 1-line block ×3, first 2 shown]
	v_sub_f32_e32 v11, v9, v11
	v_sub_f32_e32 v4, v4, v11
	v_add_f32_e32 v3, v3, v4
	v_add_f32_e32 v4, v9, v3
	v_sub_f32_e32 v9, v4, v9
	v_sub_f32_e32 v3, v3, v9
	v_mul_f32_e32 v9, v5, v4
	v_fma_f32 v4, v5, v4, -v9
	v_fmac_f32_e32 v4, v5, v3
	v_add_f32_e32 v3, v9, v4
	v_cmp_class_f32_e64 vcc, v9, s8
	v_sub_f32_e32 v11, v3, v9
	v_cndmask_b32_e32 v3, v3, v9, vcc
	v_cmp_eq_f32_e32 vcc, s9, v3
	v_cndmask_b32_e32 v6, 0, v6, vcc
	v_sub_f32_e32 v9, v3, v6
	v_sub_f32_e32 v4, v4, v11
	v_mul_f32_e32 v11, 0x3fb8aa3b, v9
	v_fma_f32 v13, v9, s25, -v11
	v_rndne_f32_e32 v14, v11
	v_fmac_f32_e32 v13, 0x32a5705f, v9
	v_sub_f32_e32 v11, v11, v14
	v_add_f32_e32 v11, v11, v13
	v_exp_f32_e32 v11, v11
	v_cvt_i32_f32_e32 v13, v14
	v_cmp_neq_f32_e64 vcc, |v3|, s15
	v_cndmask_b32_e32 v3, 0, v4, vcc
	v_cmp_ngt_f32_e32 vcc, s26, v9
	v_ldexp_f32 v4, v11, v13
	v_cndmask_b32_e32 v4, 0, v4, vcc
	v_cmp_nlt_f32_e32 vcc, s9, v9
	v_add_f32_e32 v3, v6, v3
	v_cndmask_b32_e32 v4, v7, v4, vcc
	v_fma_f32 v3, v4, v3, v4
	v_cmp_class_f32_e64 vcc, v4, s8
	v_cndmask_b32_e32 v3, v3, v4, vcc
	v_trunc_f32_e32 v4, v5
	v_cmp_eq_f32_e32 vcc, v4, v5
	v_mul_f32_e32 v4, 0.5, v5
	v_trunc_f32_e32 v6, v4
	v_cmp_neq_f32_e64 s[0:1], v6, v4
	s_and_b64 s[0:1], vcc, s[0:1]
	v_cndmask_b32_e64 v4, 1.0, v12, s[0:1]
	v_bfi_b32 v3, s27, v3, v4
	v_cmp_lt_f32_e64 s[14:15], |v12|, 1.0
	v_cndmask_b32_e32 v4, v8, v3, vcc
	v_cmp_gt_f32_e32 vcc, 0, v12
	s_xor_b64 s[2:3], s[2:3], s[14:15]
	v_cndmask_b32_e32 v3, v3, v4, vcc
	v_cndmask_b32_e64 v4, v7, 0, s[2:3]
	v_cmp_neq_f32_e64 vcc, |v12|, 1.0
	v_cndmask_b32_e32 v4, 1.0, v4, vcc
	v_cmp_class_f32_e64 vcc, v5, s8
	v_cndmask_b32_e32 v3, v3, v4, vcc
	v_cmp_eq_f32_e32 vcc, 0, v12
	v_cmp_gt_f32_e64 s[2:3], 0, v5
	s_xor_b64 s[2:3], s[2:3], vcc
	v_cmp_class_f32_e64 s[8:9], v12, s8
	v_cndmask_b32_e64 v4, v7, 0, s[2:3]
	v_cndmask_b32_e64 v6, 0, v12, s[0:1]
	v_bfi_b32 v4, s27, v4, v6
	s_or_b64 vcc, vcc, s[8:9]
	v_cndmask_b32_e32 v3, v3, v4, vcc
	v_sub_f32_e32 v3, 1.0, v3
	v_cmp_o_f32_e32 vcc, v12, v5
	v_cndmask_b32_e32 v3, v8, v3, vcc
	s_mov_b32 s0, 0xf800000
	v_mul_f32_e32 v4, 0x4f800000, v3
	v_cmp_gt_f32_e32 vcc, s0, v3
	v_cndmask_b32_e32 v3, v3, v4, vcc
	v_sqrt_f32_e32 v4, v3
	v_cmp_o_f32_e64 s[0:1], v2, v1
	v_sub_f32_e32 v5, 1.0, v10
	v_cndmask_b32_e64 v37, v8, v5, s[0:1]
	v_add_u32_e32 v1, -1, v4
	v_fma_f32 v2, -v1, v4, v3
	v_cmp_ge_f32_e64 s[0:1], 0, v2
	v_add_u32_e32 v2, 1, v4
	v_cndmask_b32_e64 v1, v4, v1, s[0:1]
	v_fma_f32 v4, -v2, v4, v3
	v_cmp_lt_f32_e64 s[0:1], 0, v4
	v_cndmask_b32_e64 v1, v1, v2, s[0:1]
	s_lshl_b64 s[0:1], s[10:11], 16
	s_sub_u32 s8, s6, s0
	s_subb_u32 s9, s7, s1
	s_load_dwordx2 s[0:1], s[4:5], s24 offset:0x0
	v_cvt_f32_f64_e32 v33, s[22:23]
	s_lshl_b64 s[2:3], s[10:11], 18
	s_load_dwordx2 s[10:11], s[4:5], s24 offset:0x120
	s_load_dwordx2 s[22:23], s[4:5], s24 offset:0x240
	;; [unrolled: 1-line block ×3, first 2 shown]
	v_cvt_f32_f64_e32 v36, s[20:21]
	s_waitcnt lgkmcnt(0)
	s_add_u32 s14, s0, s2
	s_addc_u32 s15, s1, s3
	s_and_b32 s12, s14, 15
	s_mov_b32 s13, 0
	s_add_u32 s20, s10, s2
	s_addc_u32 s21, s11, s3
	s_and_b32 s0, s20, 15
	s_mov_b32 s1, s13
	s_cmp_lg_u64 s[0:1], 0
	s_cselect_b64 s[0:1], -1, 0
	s_add_u32 s22, s22, s2
	s_addc_u32 s23, s23, s3
	s_add_u32 s24, s26, s2
	s_addc_u32 s25, s27, s3
	s_or_b32 s2, s24, s22
	s_and_b32 s2, s2, 15
	s_cmp_lg_u32 s2, 0
	s_cselect_b64 s[2:3], -1, 0
	s_or_b64 s[0:1], s[2:3], s[0:1]
	s_and_b32 s2, s6, 3
	s_mov_b32 s3, s13
	s_or_b64 s[2:3], s[12:13], s[2:3]
	v_mul_f32_e32 v2, 0x37800000, v1
	s_cmp_lg_u64 s[2:3], 0
	v_cndmask_b32_e32 v1, v1, v2, vcc
	v_mov_b32_e32 v2, 0x260
	s_cselect_b64 s[2:3], -1, 0
	v_cmp_class_f32_e32 vcc, v3, v2
	s_or_b64 s[0:1], s[0:1], s[2:3]
	v_cndmask_b32_e32 v34, v1, v3, vcc
	s_andn2_b64 vcc, exec, s[0:1]
	s_mov_b64 s[0:1], -1
	s_cbranch_vccz .LBB2_22
; %bb.7:
	v_mov_b32_e32 v1, 0x10000
	v_mov_b32_e32 v2, 0
	v_cmp_lt_i64_e32 vcc, s[8:9], v[1:2]
	v_mov_b32_e32 v20, 0
	s_and_b64 s[0:1], vcc, exec
	s_cselect_b32 s11, s9, 0
	s_cselect_b32 s10, s8, 0x10000
	v_lshlrev_b32_e32 v19, 2, v0
	v_cmp_gt_i64_e32 vcc, s[10:11], v[19:20]
	s_and_saveexec_b64 s[12:13], vcc
	s_cbranch_execz .LBB2_21
; %bb.8:
	v_div_scale_f32 v2, s[0:1], v37, v37, v35
	v_div_scale_f32 v3, vcc, v35, v37, v35
	s_load_dword s6, s[4:5], 0xd64
	s_cmp_lg_u64 s[16:17], 0
	v_mov_b32_e32 v1, v20
	s_cselect_b64 s[2:3], -1, 0
	v_mov_b32_e32 v22, v1
	s_waitcnt lgkmcnt(0)
	s_and_b32 s38, s6, 0xffff
	s_mov_b64 s[26:27], 0
	v_cmp_neq_f32_e64 s[0:1], 0, v36
	v_mul_f32_e32 v38, v35, v36
	v_lshlrev_b32_e32 v39, 4, v0
	s_mov_b32 s33, 0xf800000
	v_mov_b32_e32 v40, 0x260
	v_rcp_f32_e32 v4, v2
	s_mov_b64 s[28:29], s[20:21]
	s_mov_b64 s[30:31], s[22:23]
	;; [unrolled: 1-line block ×3, first 2 shown]
	v_fma_f32 v5, -v2, v4, 1.0
	v_fmac_f32_e32 v4, v5, v4
	v_mul_f32_e32 v5, v3, v4
	v_fma_f32 v6, -v2, v5, v3
	v_fmac_f32_e32 v5, v6, v4
	v_fma_f32 v2, -v2, v5, v3
	v_div_fmas_f32 v2, v2, v4, v5
	v_cndmask_b32_e64 v3, 0, 1, s[2:3]
	s_mov_b64 s[36:37], s[24:25]
	v_cmp_ne_u32_e64 s[2:3], 1, v3
	s_lshl_b32 s39, s38, 4
	v_mov_b32_e32 v21, v0
	v_div_fixup_f32 v41, v2, v37, v35
	s_branch .LBB2_10
.LBB2_9:                                ;   in Loop: Header=BB2_10 Depth=1
	s_add_u32 s36, s36, s39
	s_addc_u32 s37, s37, 0
	v_add_co_u32_e32 v21, vcc, s38, v21
	s_add_u32 s34, s34, s39
	v_addc_co_u32_e32 v22, vcc, 0, v22, vcc
	s_addc_u32 s35, s35, 0
	v_lshlrev_b64 v[1:2], 2, v[21:22]
	s_add_u32 s30, s30, s39
	s_addc_u32 s31, s31, 0
	s_add_u32 s28, s28, s39
	v_cmp_le_i64_e32 vcc, s[10:11], v[1:2]
	s_addc_u32 s29, s29, 0
	s_or_b64 s[26:27], vcc, s[26:27]
	global_store_dwordx4 v[27:28], v[9:12], off
	global_store_dwordx4 v[23:24], v[5:8], off
	s_andn2_b64 exec, exec, s[26:27]
	s_cbranch_execz .LBB2_21
.LBB2_10:                               ; =>This Inner Loop Header: Depth=1
	v_mov_b32_e32 v1, s35
	v_add_co_u32_e32 v29, vcc, s34, v39
	v_addc_co_u32_e32 v30, vcc, 0, v1, vcc
	v_mov_b32_e32 v1, s29
	v_add_co_u32_e32 v25, vcc, s28, v39
	v_addc_co_u32_e32 v26, vcc, 0, v1, vcc
	;; [unrolled: 3-line block ×3, first 2 shown]
	v_mov_b32_e32 v9, s37
	v_add_co_u32_e32 v23, vcc, s36, v39
	global_load_dwordx4 v[5:8], v[29:30], off
	global_load_dwordx4 v[1:4], v[25:26], off
	v_addc_co_u32_e32 v24, vcc, 0, v9, vcc
	global_load_dwordx4 v[16:19], v[27:28], off
	global_load_dwordx4 v[12:15], v[23:24], off
	s_and_b64 vcc, exec, s[2:3]
	s_cbranch_vccnz .LBB2_12
; %bb.11:                               ;   in Loop: Header=BB2_10 Depth=1
	global_load_dword v9, v20, s[16:17]
	s_waitcnt vmcnt(0)
	v_div_scale_f32 v10, s[6:7], v9, v9, v1
	v_div_scale_f32 v11, vcc, v1, v9, v1
	v_rcp_f32_e32 v42, v10
	v_fma_f32 v43, -v10, v42, 1.0
	v_fmac_f32_e32 v42, v43, v42
	v_mul_f32_e32 v43, v11, v42
	v_fma_f32 v44, -v10, v43, v11
	v_fmac_f32_e32 v43, v44, v42
	v_fma_f32 v10, -v10, v43, v11
	v_div_fmas_f32 v10, v10, v42, v43
	v_div_fixup_f32 v1, v10, v9, v1
.LBB2_12:                               ;   in Loop: Header=BB2_10 Depth=1
	s_and_b64 vcc, exec, s[2:3]
	s_cbranch_vccnz .LBB2_14
; %bb.13:                               ;   in Loop: Header=BB2_10 Depth=1
	global_load_dword v9, v20, s[16:17]
	s_waitcnt vmcnt(0)
	v_div_scale_f32 v10, s[6:7], v9, v9, v2
	v_div_scale_f32 v11, vcc, v2, v9, v2
	v_rcp_f32_e32 v42, v10
	v_fma_f32 v43, -v10, v42, 1.0
	v_fmac_f32_e32 v42, v43, v42
	v_mul_f32_e32 v43, v11, v42
	v_fma_f32 v44, -v10, v43, v11
	v_fmac_f32_e32 v43, v44, v42
	v_fma_f32 v10, -v10, v43, v11
	v_div_fmas_f32 v10, v10, v42, v43
	v_div_fixup_f32 v2, v10, v9, v2
.LBB2_14:                               ;   in Loop: Header=BB2_10 Depth=1
	s_and_b64 vcc, exec, s[2:3]
	s_cbranch_vccnz .LBB2_16
; %bb.15:                               ;   in Loop: Header=BB2_10 Depth=1
	global_load_dword v9, v20, s[16:17]
	s_waitcnt vmcnt(0)
	v_div_scale_f32 v10, s[6:7], v9, v9, v3
	v_div_scale_f32 v11, vcc, v3, v9, v3
	v_rcp_f32_e32 v42, v10
	v_fma_f32 v43, -v10, v42, 1.0
	v_fmac_f32_e32 v42, v43, v42
	v_mul_f32_e32 v43, v11, v42
	v_fma_f32 v44, -v10, v43, v11
	v_fmac_f32_e32 v43, v44, v42
	v_fma_f32 v10, -v10, v43, v11
	v_div_fmas_f32 v10, v10, v42, v43
	v_div_fixup_f32 v3, v10, v9, v3
.LBB2_16:                               ;   in Loop: Header=BB2_10 Depth=1
	s_and_b64 vcc, exec, s[2:3]
	s_cbranch_vccnz .LBB2_18
; %bb.17:                               ;   in Loop: Header=BB2_10 Depth=1
	global_load_dword v9, v20, s[16:17]
	s_waitcnt vmcnt(0)
	v_div_scale_f32 v10, s[6:7], v9, v9, v4
	v_div_scale_f32 v11, vcc, v4, v9, v4
	v_rcp_f32_e32 v42, v10
	v_fma_f32 v43, -v10, v42, 1.0
	v_fmac_f32_e32 v42, v43, v42
	v_mul_f32_e32 v43, v11, v42
	v_fma_f32 v44, -v10, v43, v11
	v_fmac_f32_e32 v43, v44, v42
	v_fma_f32 v10, -v10, v43, v11
	v_div_fmas_f32 v10, v10, v42, v43
	v_div_fixup_f32 v4, v10, v9, v4
.LBB2_18:                               ;   in Loop: Header=BB2_10 Depth=1
	s_waitcnt vmcnt(2)
	v_cndmask_b32_e64 v9, v3, -v3, s[18:19]
	v_fma_f32 v10, -v38, v7, v7
	v_cndmask_b32_e64 v10, v7, v10, s[0:1]
	v_mul_f32_e32 v7, v9, v9
	v_fma_f32 v7, -v32, v7, v7
	s_waitcnt vmcnt(0)
	v_fmac_f32_e32 v7, v32, v14
	v_fma_f32 v11, -v31, v9, v9
	v_cmp_gt_f32_e32 vcc, s33, v7
	v_mul_f32_e32 v9, 0x4f800000, v7
	v_cndmask_b32_e32 v9, v7, v9, vcc
	v_sqrt_f32_e32 v14, v9
	v_fmac_f32_e32 v11, v31, v18
	v_add_u32_e32 v18, -1, v14
	v_fma_f32 v42, -v18, v14, v9
	v_cmp_ge_f32_e64 s[6:7], 0, v42
	v_add_u32_e32 v42, 1, v14
	v_cndmask_b32_e64 v18, v14, v18, s[6:7]
	v_fma_f32 v14, -v42, v14, v9
	v_cmp_lt_f32_e64 s[6:7], 0, v14
	v_cndmask_b32_e64 v14, v18, v42, s[6:7]
	v_mul_f32_e32 v18, 0x37800000, v14
	v_cndmask_b32_e32 v14, v14, v18, vcc
	v_cmp_class_f32_e32 vcc, v9, v40
	v_cndmask_b32_e32 v9, v14, v9, vcc
	v_div_scale_f32 v14, s[6:7], v34, v34, v9
	v_rcp_f32_e32 v18, v14
	v_fma_f32 v42, -v14, v18, 1.0
	v_fmac_f32_e32 v18, v42, v18
	v_div_scale_f32 v42, vcc, v9, v34, v9
	v_mul_f32_e32 v43, v42, v18
	v_fma_f32 v44, -v14, v43, v42
	v_fmac_f32_e32 v43, v44, v18
	v_fma_f32 v14, -v14, v43, v42
	v_div_fmas_f32 v14, v14, v18, v43
	v_div_fixup_f32 v9, v14, v34, v9
	v_add_f32_e32 v9, v9, v33
	v_mul_f32_e32 v14, v41, v11
	v_div_scale_f32 v18, s[6:7], v9, v9, v14
	v_rcp_f32_e32 v42, v18
	v_fma_f32 v43, -v18, v42, 1.0
	v_fmac_f32_e32 v42, v43, v42
	v_div_scale_f32 v43, vcc, v14, v9, v14
	v_mul_f32_e32 v44, v43, v42
	v_fma_f32 v45, -v18, v44, v43
	v_fmac_f32_e32 v44, v45, v42
	v_fma_f32 v18, -v18, v44, v43
	v_div_fmas_f32 v18, v18, v42, v44
	v_div_fixup_f32 v9, v18, v9, v14
	v_sub_f32_e32 v18, v10, v9
	v_cndmask_b32_e64 v9, v2, -v2, s[18:19]
	v_fma_f32 v10, -v38, v6, v6
	v_cndmask_b32_e64 v14, v6, v10, s[0:1]
	v_mul_f32_e32 v6, v9, v9
	v_fma_f32 v6, -v32, v6, v6
	v_fmac_f32_e32 v6, v32, v13
	v_fma_f32 v10, -v31, v9, v9
	v_cmp_gt_f32_e32 vcc, s33, v6
	v_mul_f32_e32 v9, 0x4f800000, v6
	v_cndmask_b32_e32 v9, v6, v9, vcc
	v_sqrt_f32_e32 v13, v9
	v_fmac_f32_e32 v10, v31, v17
	v_add_u32_e32 v17, -1, v13
	v_fma_f32 v42, -v17, v13, v9
	v_cmp_ge_f32_e64 s[6:7], 0, v42
	v_add_u32_e32 v42, 1, v13
	v_cndmask_b32_e64 v17, v13, v17, s[6:7]
	v_fma_f32 v13, -v42, v13, v9
	v_cmp_lt_f32_e64 s[6:7], 0, v13
	v_cndmask_b32_e64 v13, v17, v42, s[6:7]
	v_mul_f32_e32 v17, 0x37800000, v13
	v_cndmask_b32_e32 v13, v13, v17, vcc
	v_cmp_class_f32_e32 vcc, v9, v40
	v_cndmask_b32_e32 v9, v13, v9, vcc
	v_div_scale_f32 v13, s[6:7], v34, v34, v9
	v_rcp_f32_e32 v17, v13
	v_fma_f32 v42, -v13, v17, 1.0
	v_fmac_f32_e32 v17, v42, v17
	v_div_scale_f32 v42, vcc, v9, v34, v9
	v_mul_f32_e32 v43, v42, v17
	v_fma_f32 v44, -v13, v43, v42
	v_fmac_f32_e32 v43, v44, v17
	v_fma_f32 v13, -v13, v43, v42
	v_div_fmas_f32 v13, v13, v17, v43
	v_div_fixup_f32 v9, v13, v34, v9
	v_add_f32_e32 v9, v9, v33
	v_mul_f32_e32 v13, v41, v10
	v_div_scale_f32 v17, s[6:7], v9, v9, v13
	v_rcp_f32_e32 v42, v17
	v_fma_f32 v43, -v17, v42, 1.0
	v_fmac_f32_e32 v42, v43, v42
	v_div_scale_f32 v43, vcc, v13, v9, v13
	v_mul_f32_e32 v44, v43, v42
	v_fma_f32 v45, -v17, v44, v43
	v_fmac_f32_e32 v44, v45, v42
	v_fma_f32 v17, -v17, v44, v43
	v_div_fmas_f32 v17, v17, v42, v44
	v_div_fixup_f32 v9, v17, v9, v13
	v_sub_f32_e32 v17, v14, v9
	v_cndmask_b32_e64 v13, v1, -v1, s[18:19]
	v_fma_f32 v9, -v38, v5, v5
	v_cndmask_b32_e64 v14, v5, v9, s[0:1]
	v_mul_f32_e32 v5, v13, v13
	v_fma_f32 v5, -v32, v5, v5
	v_fmac_f32_e32 v5, v32, v12
	v_cmp_gt_f32_e32 vcc, s33, v5
	v_mul_f32_e32 v12, 0x4f800000, v5
	v_cndmask_b32_e32 v12, v5, v12, vcc
	v_fma_f32 v9, -v31, v13, v13
	v_sqrt_f32_e32 v13, v12
	v_fmac_f32_e32 v9, v31, v16
	v_add_u32_e32 v16, -1, v13
	v_fma_f32 v42, -v16, v13, v12
	v_cmp_ge_f32_e64 s[6:7], 0, v42
	v_add_u32_e32 v42, 1, v13
	v_cndmask_b32_e64 v16, v13, v16, s[6:7]
	v_fma_f32 v13, -v42, v13, v12
	v_cmp_lt_f32_e64 s[6:7], 0, v13
	v_cndmask_b32_e64 v13, v16, v42, s[6:7]
	v_mul_f32_e32 v16, 0x37800000, v13
	v_cndmask_b32_e32 v13, v13, v16, vcc
	v_cmp_class_f32_e32 vcc, v12, v40
	v_cndmask_b32_e32 v12, v13, v12, vcc
	v_div_scale_f32 v13, s[6:7], v34, v34, v12
	v_rcp_f32_e32 v16, v13
	v_fma_f32 v42, -v13, v16, 1.0
	v_fmac_f32_e32 v16, v42, v16
	v_div_scale_f32 v42, vcc, v12, v34, v12
	v_mul_f32_e32 v43, v42, v16
	v_fma_f32 v44, -v13, v43, v42
	v_fmac_f32_e32 v43, v44, v16
	v_fma_f32 v13, -v13, v43, v42
	v_div_fmas_f32 v13, v13, v16, v43
	v_div_fixup_f32 v12, v13, v34, v12
	v_add_f32_e32 v12, v12, v33
	v_mul_f32_e32 v13, v41, v9
	v_div_scale_f32 v16, s[6:7], v12, v12, v13
	v_rcp_f32_e32 v42, v16
	v_fma_f32 v43, -v16, v42, 1.0
	v_fmac_f32_e32 v42, v43, v42
	v_div_scale_f32 v43, vcc, v13, v12, v13
	v_mul_f32_e32 v44, v43, v42
	v_fma_f32 v45, -v16, v44, v43
	v_fmac_f32_e32 v44, v45, v42
	v_fma_f32 v16, -v16, v44, v43
	v_div_fmas_f32 v16, v16, v42, v44
	v_div_fixup_f32 v12, v16, v12, v13
	v_sub_f32_e32 v16, v14, v12
	v_cndmask_b32_e64 v13, v4, -v4, s[18:19]
	v_fma_f32 v12, -v38, v8, v8
	v_cndmask_b32_e64 v14, v8, v12, s[0:1]
	v_mul_f32_e32 v8, v13, v13
	v_fma_f32 v8, -v32, v8, v8
	v_fmac_f32_e32 v8, v32, v15
	v_fma_f32 v12, -v31, v13, v13
	v_cmp_gt_f32_e32 vcc, s33, v8
	v_mul_f32_e32 v13, 0x4f800000, v8
	v_cndmask_b32_e32 v13, v8, v13, vcc
	v_sqrt_f32_e32 v15, v13
	v_fmac_f32_e32 v12, v31, v19
	v_add_u32_e32 v19, -1, v15
	v_fma_f32 v42, -v19, v15, v13
	v_cmp_ge_f32_e64 s[6:7], 0, v42
	v_add_u32_e32 v42, 1, v15
	v_cndmask_b32_e64 v19, v15, v19, s[6:7]
	v_fma_f32 v15, -v42, v15, v13
	v_cmp_lt_f32_e64 s[6:7], 0, v15
	v_cndmask_b32_e64 v15, v19, v42, s[6:7]
	v_mul_f32_e32 v19, 0x37800000, v15
	v_cndmask_b32_e32 v15, v15, v19, vcc
	v_cmp_class_f32_e32 vcc, v13, v40
	v_cndmask_b32_e32 v13, v15, v13, vcc
	v_div_scale_f32 v15, s[6:7], v34, v34, v13
	v_rcp_f32_e32 v19, v15
	v_fma_f32 v42, -v15, v19, 1.0
	v_fmac_f32_e32 v19, v42, v19
	v_div_scale_f32 v42, vcc, v13, v34, v13
	v_mul_f32_e32 v43, v42, v19
	v_fma_f32 v44, -v15, v43, v42
	v_fmac_f32_e32 v43, v44, v19
	v_fma_f32 v15, -v15, v43, v42
	v_div_fmas_f32 v15, v15, v19, v43
	v_div_fixup_f32 v13, v15, v34, v13
	v_add_f32_e32 v13, v13, v33
	v_mul_f32_e32 v15, v41, v12
	v_div_scale_f32 v19, s[6:7], v13, v13, v15
	v_rcp_f32_e32 v42, v19
	v_fma_f32 v43, -v19, v42, 1.0
	v_fmac_f32_e32 v42, v43, v42
	v_div_scale_f32 v43, vcc, v15, v13, v15
	v_mul_f32_e32 v44, v43, v42
	v_fma_f32 v45, -v19, v44, v43
	v_fmac_f32_e32 v44, v45, v42
	v_fma_f32 v19, -v19, v44, v43
	v_div_fmas_f32 v19, v19, v42, v44
	s_and_b64 vcc, exec, s[2:3]
	v_div_fixup_f32 v13, v19, v13, v15
	v_sub_f32_e32 v19, v14, v13
	global_store_dwordx4 v[29:30], v[16:19], off
	s_cbranch_vccnz .LBB2_9
; %bb.19:                               ;   in Loop: Header=BB2_10 Depth=1
	global_store_dwordx4 v[25:26], v[1:4], off
	s_branch .LBB2_9
.LBB2_20:
                                        ; implicit-def: $sgpr7
	v_mov_b32_e32 v35, s7
	s_branch .LBB2_2
.LBB2_21:
	s_or_b64 exec, exec, s[12:13]
	s_mov_b64 s[0:1], 0
.LBB2_22:
	s_andn2_b64 vcc, exec, s[0:1]
	s_cbranch_vccnz .LBB2_84
; %bb.23:
	v_cmp_lt_i64_e64 s[0:1], s[8:9], 1
	s_and_b64 vcc, exec, s[0:1]
	s_cbranch_vccnz .LBB2_84
; %bb.24:
	v_div_scale_f32 v3, s[0:1], v37, v37, v35
	v_div_scale_f32 v4, vcc, v35, v37, v35
	v_mov_b32_e32 v1, 0x10000
	s_load_dword s6, s[4:5], 0xd64
	v_mov_b32_e32 v2, 0
	v_cmp_lt_u64_e64 s[2:3], s[8:9], v[1:2]
	v_mov_b32_e32 v9, 0
	s_mov_b64 s[26:27], 0
	v_cmp_neq_f32_e64 s[0:1], 0, v36
	v_mul_f32_e32 v10, v35, v36
	s_mov_b32 s33, 0xf800000
	v_mov_b32_e32 v12, 0x260
	v_rcp_f32_e32 v5, v3
	v_fma_f32 v6, -v3, v5, 1.0
	v_fmac_f32_e32 v5, v6, v5
	v_mul_f32_e32 v6, v4, v5
	v_fma_f32 v7, -v3, v6, v4
	v_fmac_f32_e32 v6, v7, v5
	v_fma_f32 v3, -v3, v6, v4
	v_div_fmas_f32 v3, v3, v5, v6
	v_cmp_lt_i64_e32 vcc, s[8:9], v[1:2]
	s_and_b64 s[4:5], vcc, exec
	s_cselect_b32 s29, s9, 0
	s_cselect_b32 s28, s8, 0x10000
	s_waitcnt lgkmcnt(0)
	s_and_b32 s38, s6, 0xffff
	s_and_b64 s[2:3], s[2:3], exec
	s_cselect_b32 s31, s9, 0
	s_cselect_b32 s30, s8, 0x10000
	s_lshl_b32 s40, s38, 1
	s_cmp_lg_u64 s[16:17], 0
	s_mul_i32 s39, s38, 3
	s_cselect_b64 s[34:35], -1, 0
	s_lshl_b32 s41, s38, 2
	v_div_fixup_f32 v11, v3, v37, v35
	s_branch .LBB2_26
.LBB2_25:                               ;   in Loop: Header=BB2_26 Depth=1
	s_or_b64 exec, exec, s[2:3]
	s_add_u32 s26, s26, s41
	v_mov_b32_e32 v1, s28
	s_addc_u32 s27, s27, 0
	v_mov_b32_e32 v2, s29
	v_cmp_ge_i64_e32 vcc, s[26:27], v[1:2]
	s_cbranch_vccnz .LBB2_84
.LBB2_26:                               ; =>This Inner Loop Header: Depth=1
	v_mov_b32_e32 v2, s27
	v_add_co_u32_e32 v1, vcc, s26, v0
	v_addc_co_u32_e32 v2, vcc, 0, v2, vcc
	v_cmp_gt_u64_e32 vcc, s[30:31], v[1:2]
	v_mov_b32_e32 v13, 0
	v_mov_b32_e32 v22, 0
	s_and_saveexec_b64 s[4:5], vcc
	s_cbranch_execz .LBB2_28
; %bb.27:                               ;   in Loop: Header=BB2_26 Depth=1
	v_lshlrev_b64 v[3:4], 2, v[1:2]
	v_mov_b32_e32 v6, s21
	v_add_co_u32_e64 v5, s[2:3], s20, v3
	v_addc_co_u32_e64 v6, s[2:3], v6, v4, s[2:3]
	v_mov_b32_e32 v7, s15
	v_add_co_u32_e64 v3, s[2:3], s14, v3
	v_addc_co_u32_e64 v4, s[2:3], v7, v4, s[2:3]
	global_load_dword v22, v[3:4], off
	global_load_dword v13, v[5:6], off
.LBB2_28:                               ;   in Loop: Header=BB2_26 Depth=1
	s_or_b64 exec, exec, s[4:5]
	v_mov_b32_e32 v14, 0
	v_mov_b32_e32 v27, 0
	v_mov_b32_e32 v18, 0
	s_and_saveexec_b64 s[2:3], vcc
	s_cbranch_execz .LBB2_30
; %bb.29:                               ;   in Loop: Header=BB2_26 Depth=1
	v_lshlrev_b64 v[3:4], 2, v[1:2]
	v_mov_b32_e32 v6, s25
	v_add_co_u32_e32 v5, vcc, s24, v3
	v_addc_co_u32_e32 v6, vcc, v6, v4, vcc
	v_mov_b32_e32 v7, s23
	v_add_co_u32_e32 v3, vcc, s22, v3
	v_addc_co_u32_e32 v4, vcc, v7, v4, vcc
	global_load_dword v18, v[3:4], off
	global_load_dword v27, v[5:6], off
.LBB2_30:                               ;   in Loop: Header=BB2_26 Depth=1
	s_or_b64 exec, exec, s[2:3]
	v_add_co_u32_e32 v3, vcc, s38, v1
	v_addc_co_u32_e32 v4, vcc, 0, v2, vcc
	v_cmp_gt_u64_e32 vcc, s[30:31], v[3:4]
	v_mov_b32_e32 v20, 0
	s_and_saveexec_b64 s[4:5], vcc
	s_cbranch_execz .LBB2_32
; %bb.31:                               ;   in Loop: Header=BB2_26 Depth=1
	v_lshlrev_b64 v[5:6], 2, v[3:4]
	v_mov_b32_e32 v8, s21
	v_add_co_u32_e64 v7, s[2:3], s20, v5
	v_addc_co_u32_e64 v8, s[2:3], v8, v6, s[2:3]
	v_mov_b32_e32 v14, s15
	v_add_co_u32_e64 v5, s[2:3], s14, v5
	v_addc_co_u32_e64 v6, s[2:3], v14, v6, s[2:3]
	global_load_dword v20, v[5:6], off
	global_load_dword v14, v[7:8], off
.LBB2_32:                               ;   in Loop: Header=BB2_26 Depth=1
	s_or_b64 exec, exec, s[4:5]
	v_mov_b32_e32 v15, 0
	v_mov_b32_e32 v28, 0
	v_mov_b32_e32 v29, 0
	s_and_saveexec_b64 s[2:3], vcc
	s_cbranch_execz .LBB2_34
; %bb.33:                               ;   in Loop: Header=BB2_26 Depth=1
	v_lshlrev_b64 v[5:6], 2, v[3:4]
	v_mov_b32_e32 v8, s25
	v_add_co_u32_e32 v7, vcc, s24, v5
	v_addc_co_u32_e32 v8, vcc, v8, v6, vcc
	v_mov_b32_e32 v16, s23
	v_add_co_u32_e32 v5, vcc, s22, v5
	v_addc_co_u32_e32 v6, vcc, v16, v6, vcc
	global_load_dword v29, v[5:6], off
	global_load_dword v28, v[7:8], off
.LBB2_34:                               ;   in Loop: Header=BB2_26 Depth=1
	s_or_b64 exec, exec, s[2:3]
	v_add_co_u32_e32 v5, vcc, s40, v1
	v_addc_co_u32_e32 v6, vcc, 0, v2, vcc
	v_cmp_gt_u64_e32 vcc, s[30:31], v[5:6]
	;; [unrolled: 35-line block ×3, first 2 shown]
	v_mov_b32_e32 v17, 0
	s_and_saveexec_b64 s[4:5], vcc
	s_cbranch_execz .LBB2_40
; %bb.39:                               ;   in Loop: Header=BB2_26 Depth=1
	v_lshlrev_b64 v[16:17], 2, v[7:8]
	v_mov_b32_e32 v21, s21
	v_add_co_u32_e64 v23, s[2:3], s20, v16
	v_addc_co_u32_e64 v24, s[2:3], v21, v17, s[2:3]
	v_mov_b32_e32 v21, s15
	v_add_co_u32_e64 v35, s[2:3], s14, v16
	v_addc_co_u32_e64 v36, s[2:3], v21, v17, s[2:3]
	global_load_dword v17, v[35:36], off
	global_load_dword v16, v[23:24], off
.LBB2_40:                               ;   in Loop: Header=BB2_26 Depth=1
	s_or_b64 exec, exec, s[4:5]
	v_mov_b32_e32 v23, 0
	v_mov_b32_e32 v24, 0
	s_and_saveexec_b64 s[2:3], vcc
	s_cbranch_execz .LBB2_42
; %bb.41:                               ;   in Loop: Header=BB2_26 Depth=1
	v_lshlrev_b64 v[23:24], 2, v[7:8]
	v_mov_b32_e32 v21, s25
	v_add_co_u32_e32 v35, vcc, s24, v23
	v_addc_co_u32_e32 v36, vcc, v21, v24, vcc
	v_mov_b32_e32 v21, s23
	v_add_co_u32_e32 v37, vcc, s22, v23
	v_addc_co_u32_e32 v38, vcc, v21, v24, vcc
	global_load_dword v24, v[37:38], off
	global_load_dword v23, v[35:36], off
.LBB2_42:                               ;   in Loop: Header=BB2_26 Depth=1
	s_or_b64 exec, exec, s[2:3]
	v_cndmask_b32_e64 v21, 0, 1, s[34:35]
	v_cmp_ne_u32_e64 s[4:5], 1, v21
	s_andn2_b64 vcc, exec, s[34:35]
	s_cbranch_vccnz .LBB2_44
; %bb.43:                               ;   in Loop: Header=BB2_26 Depth=1
	global_load_dword v21, v9, s[16:17]
	s_waitcnt vmcnt(0)
	v_div_scale_f32 v30, s[2:3], v21, v21, v13
	v_div_scale_f32 v35, vcc, v13, v21, v13
	v_rcp_f32_e32 v36, v30
	v_fma_f32 v37, -v30, v36, 1.0
	v_fmac_f32_e32 v36, v37, v36
	v_mul_f32_e32 v37, v35, v36
	v_fma_f32 v38, -v30, v37, v35
	v_fmac_f32_e32 v37, v38, v36
	v_fma_f32 v30, -v30, v37, v35
	v_div_fmas_f32 v30, v30, v36, v37
	v_div_fixup_f32 v13, v30, v21, v13
.LBB2_44:                               ;   in Loop: Header=BB2_26 Depth=1
	s_and_b64 vcc, exec, s[4:5]
	s_cbranch_vccnz .LBB2_46
; %bb.45:                               ;   in Loop: Header=BB2_26 Depth=1
	global_load_dword v21, v9, s[16:17]
	s_waitcnt vmcnt(0)
	v_div_scale_f32 v30, s[2:3], v21, v21, v14
	v_div_scale_f32 v35, vcc, v14, v21, v14
	v_rcp_f32_e32 v36, v30
	v_fma_f32 v37, -v30, v36, 1.0
	v_fmac_f32_e32 v36, v37, v36
	v_mul_f32_e32 v37, v35, v36
	v_fma_f32 v38, -v30, v37, v35
	v_fmac_f32_e32 v37, v38, v36
	v_fma_f32 v30, -v30, v37, v35
	v_div_fmas_f32 v30, v30, v36, v37
	v_div_fixup_f32 v14, v30, v21, v14
.LBB2_46:                               ;   in Loop: Header=BB2_26 Depth=1
	s_and_b64 vcc, exec, s[4:5]
	;; [unrolled: 17-line block ×3, first 2 shown]
	s_cbranch_vccnz .LBB2_50
; %bb.49:                               ;   in Loop: Header=BB2_26 Depth=1
	global_load_dword v21, v9, s[16:17]
	s_waitcnt vmcnt(0)
	v_div_scale_f32 v30, s[2:3], v21, v21, v16
	v_div_scale_f32 v35, vcc, v16, v21, v16
	v_rcp_f32_e32 v36, v30
	v_fma_f32 v37, -v30, v36, 1.0
	v_fmac_f32_e32 v36, v37, v36
	v_mul_f32_e32 v37, v35, v36
	v_fma_f32 v38, -v30, v37, v35
	v_fmac_f32_e32 v37, v38, v36
	v_fma_f32 v30, -v30, v37, v35
	v_div_fmas_f32 v30, v30, v36, v37
	v_div_fixup_f32 v16, v30, v21, v16
.LBB2_50:                               ;   in Loop: Header=BB2_26 Depth=1
	s_waitcnt vmcnt(0)
	v_cndmask_b32_e64 v30, v13, -v13, s[18:19]
	v_fma_f32 v21, -v31, v30, v30
	v_fmac_f32_e32 v21, v31, v18
	v_mul_f32_e32 v18, v30, v30
	v_fma_f32 v18, -v32, v18, v18
	v_cmp_gt_i64_e64 s[2:3], s[28:29], v[1:2]
	v_fmac_f32_e32 v18, v32, v27
	s_and_saveexec_b64 s[8:9], s[2:3]
	s_cbranch_execz .LBB2_52
; %bb.51:                               ;   in Loop: Header=BB2_26 Depth=1
	v_mul_f32_e32 v27, 0x4f800000, v18
	v_cmp_gt_f32_e32 vcc, s33, v18
	v_cndmask_b32_e32 v27, v18, v27, vcc
	v_sqrt_f32_e32 v30, v27
	v_add_u32_e32 v35, -1, v30
	v_fma_f32 v37, -v35, v30, v27
	v_add_u32_e32 v36, 1, v30
	v_cmp_ge_f32_e64 s[6:7], 0, v37
	v_cndmask_b32_e64 v35, v30, v35, s[6:7]
	v_fma_f32 v30, -v36, v30, v27
	v_cmp_lt_f32_e64 s[6:7], 0, v30
	v_cndmask_b32_e64 v30, v35, v36, s[6:7]
	v_mul_f32_e32 v35, 0x37800000, v30
	v_cndmask_b32_e32 v30, v30, v35, vcc
	v_cmp_class_f32_e32 vcc, v27, v12
	v_cndmask_b32_e32 v27, v30, v27, vcc
	v_div_scale_f32 v30, s[6:7], v34, v34, v27
	v_div_scale_f32 v35, vcc, v27, v34, v27
	v_rcp_f32_e32 v36, v30
	v_fma_f32 v37, -v30, v36, 1.0
	v_fmac_f32_e32 v36, v37, v36
	v_mul_f32_e32 v37, v35, v36
	v_fma_f32 v38, -v30, v37, v35
	v_fmac_f32_e32 v37, v38, v36
	v_fma_f32 v30, -v30, v37, v35
	v_div_fmas_f32 v30, v30, v36, v37
	v_mul_f32_e32 v37, v11, v21
	v_div_fixup_f32 v27, v30, v34, v27
	v_add_f32_e32 v27, v27, v33
	v_div_scale_f32 v30, s[6:7], v27, v27, v37
	v_div_scale_f32 v35, vcc, v37, v27, v37
	v_rcp_f32_e32 v36, v30
	v_fma_f32 v38, -v30, v36, 1.0
	v_fmac_f32_e32 v36, v38, v36
	v_mul_f32_e32 v38, v35, v36
	v_fma_f32 v39, -v30, v38, v35
	v_fmac_f32_e32 v38, v39, v36
	v_fma_f32 v30, -v30, v38, v35
	v_div_fmas_f32 v30, v30, v36, v38
	v_lshlrev_b64 v[35:36], 2, v[1:2]
	v_fma_f32 v38, -v10, v22, v22
	v_mov_b32_e32 v39, s15
	v_cndmask_b32_e64 v22, v22, v38, s[0:1]
	v_add_co_u32_e32 v35, vcc, s14, v35
	v_addc_co_u32_e32 v36, vcc, v39, v36, vcc
	v_div_fixup_f32 v27, v30, v27, v37
	v_sub_f32_e32 v22, v22, v27
	global_store_dword v[35:36], v22, off
.LBB2_52:                               ;   in Loop: Header=BB2_26 Depth=1
	s_or_b64 exec, exec, s[8:9]
	v_cndmask_b32_e64 v22, v14, -v14, s[18:19]
	v_fma_f32 v27, -v31, v22, v22
	v_mul_f32_e32 v22, v22, v22
	v_cmp_gt_i64_e64 s[6:7], s[28:29], v[3:4]
	v_fma_f32 v22, -v32, v22, v22
	v_fmac_f32_e32 v27, v31, v29
	v_fmac_f32_e32 v22, v32, v28
	s_and_saveexec_b64 s[10:11], s[6:7]
	s_cbranch_execz .LBB2_54
; %bb.53:                               ;   in Loop: Header=BB2_26 Depth=1
	v_mul_f32_e32 v28, 0x4f800000, v22
	v_cmp_gt_f32_e32 vcc, s33, v22
	v_cndmask_b32_e32 v28, v22, v28, vcc
	v_sqrt_f32_e32 v29, v28
	v_add_u32_e32 v30, -1, v29
	v_fma_f32 v36, -v30, v29, v28
	v_add_u32_e32 v35, 1, v29
	v_cmp_ge_f32_e64 s[8:9], 0, v36
	v_cndmask_b32_e64 v30, v29, v30, s[8:9]
	v_fma_f32 v29, -v35, v29, v28
	v_cmp_lt_f32_e64 s[8:9], 0, v29
	v_cndmask_b32_e64 v29, v30, v35, s[8:9]
	v_mul_f32_e32 v30, 0x37800000, v29
	v_cndmask_b32_e32 v29, v29, v30, vcc
	v_cmp_class_f32_e32 vcc, v28, v12
	v_cndmask_b32_e32 v28, v29, v28, vcc
	v_div_scale_f32 v29, s[8:9], v34, v34, v28
	v_div_scale_f32 v30, vcc, v28, v34, v28
	v_rcp_f32_e32 v35, v29
	v_fma_f32 v36, -v29, v35, 1.0
	v_fmac_f32_e32 v35, v36, v35
	v_mul_f32_e32 v36, v30, v35
	v_fma_f32 v37, -v29, v36, v30
	v_fmac_f32_e32 v36, v37, v35
	v_fma_f32 v29, -v29, v36, v30
	v_div_fmas_f32 v29, v29, v35, v36
	v_mul_f32_e32 v30, v11, v27
	v_div_fixup_f32 v28, v29, v34, v28
	v_add_f32_e32 v35, v28, v33
	v_div_scale_f32 v28, s[8:9], v35, v35, v30
	v_div_scale_f32 v29, vcc, v30, v35, v30
	v_rcp_f32_e32 v36, v28
	v_fma_f32 v37, -v28, v36, 1.0
	v_fmac_f32_e32 v36, v37, v36
	v_mul_f32_e32 v37, v29, v36
	v_fma_f32 v38, -v28, v37, v29
	v_fmac_f32_e32 v37, v38, v36
	v_fma_f32 v28, -v28, v37, v29
	v_div_fmas_f32 v36, v28, v36, v37
	v_lshlrev_b64 v[28:29], 2, v[3:4]
	v_fma_f32 v37, -v10, v20, v20
	v_mov_b32_e32 v38, s15
	v_cndmask_b32_e64 v20, v20, v37, s[0:1]
	v_add_co_u32_e32 v28, vcc, s14, v28
	v_addc_co_u32_e32 v29, vcc, v38, v29, vcc
	v_div_fixup_f32 v30, v36, v35, v30
	v_sub_f32_e32 v20, v20, v30
	global_store_dword v[28:29], v20, off
.LBB2_54:                               ;   in Loop: Header=BB2_26 Depth=1
	s_or_b64 exec, exec, s[10:11]
	v_cndmask_b32_e64 v20, v15, -v15, s[18:19]
	v_fma_f32 v28, -v31, v20, v20
	v_mul_f32_e32 v20, v20, v20
	v_cmp_gt_i64_e64 s[8:9], s[28:29], v[5:6]
	v_fma_f32 v20, -v32, v20, v20
	v_fmac_f32_e32 v28, v31, v26
	v_fmac_f32_e32 v20, v32, v25
	s_and_saveexec_b64 s[12:13], s[8:9]
	s_cbranch_execz .LBB2_56
; %bb.55:                               ;   in Loop: Header=BB2_26 Depth=1
	v_mul_f32_e32 v25, 0x4f800000, v20
	v_cmp_gt_f32_e32 vcc, s33, v20
	v_cndmask_b32_e32 v25, v20, v25, vcc
	v_sqrt_f32_e32 v26, v25
	v_add_u32_e32 v29, -1, v26
	v_fma_f32 v35, -v29, v26, v25
	v_add_u32_e32 v30, 1, v26
	v_cmp_ge_f32_e64 s[10:11], 0, v35
	v_cndmask_b32_e64 v29, v26, v29, s[10:11]
	v_fma_f32 v26, -v30, v26, v25
	v_cmp_lt_f32_e64 s[10:11], 0, v26
	v_cndmask_b32_e64 v26, v29, v30, s[10:11]
	v_mul_f32_e32 v29, 0x37800000, v26
	v_cndmask_b32_e32 v26, v26, v29, vcc
	v_cmp_class_f32_e32 vcc, v25, v12
	v_cndmask_b32_e32 v25, v26, v25, vcc
	v_div_scale_f32 v26, s[10:11], v34, v34, v25
	v_div_scale_f32 v29, vcc, v25, v34, v25
	v_rcp_f32_e32 v30, v26
	v_fma_f32 v35, -v26, v30, 1.0
	v_fmac_f32_e32 v30, v35, v30
	v_mul_f32_e32 v35, v29, v30
	v_fma_f32 v36, -v26, v35, v29
	v_fmac_f32_e32 v35, v36, v30
	v_fma_f32 v26, -v26, v35, v29
	v_div_fmas_f32 v26, v26, v30, v35
	v_mul_f32_e32 v29, v11, v28
	v_div_fixup_f32 v25, v26, v34, v25
	v_add_f32_e32 v30, v25, v33
	v_div_scale_f32 v25, s[10:11], v30, v30, v29
	v_div_scale_f32 v26, vcc, v29, v30, v29
	v_rcp_f32_e32 v35, v25
	v_fma_f32 v36, -v25, v35, 1.0
	v_fmac_f32_e32 v35, v36, v35
	v_mul_f32_e32 v36, v26, v35
	v_fma_f32 v37, -v25, v36, v26
	v_fmac_f32_e32 v36, v37, v35
	v_fma_f32 v25, -v25, v36, v26
	v_div_fmas_f32 v35, v25, v35, v36
	v_lshlrev_b64 v[25:26], 2, v[5:6]
	v_fma_f32 v36, -v10, v19, v19
	v_mov_b32_e32 v37, s15
	v_cndmask_b32_e64 v19, v19, v36, s[0:1]
	v_add_co_u32_e32 v25, vcc, s14, v25
	v_addc_co_u32_e32 v26, vcc, v37, v26, vcc
	v_div_fixup_f32 v29, v35, v30, v29
	v_sub_f32_e32 v19, v19, v29
	global_store_dword v[25:26], v19, off
.LBB2_56:                               ;   in Loop: Header=BB2_26 Depth=1
	s_or_b64 exec, exec, s[12:13]
	v_cndmask_b32_e64 v19, v16, -v16, s[18:19]
	v_fma_f32 v25, -v31, v19, v19
	v_mul_f32_e32 v19, v19, v19
	v_fma_f32 v19, -v32, v19, v19
	v_cmp_gt_i64_e64 s[10:11], s[28:29], v[7:8]
	v_fmac_f32_e32 v25, v31, v24
	v_fmac_f32_e32 v19, v32, v23
	s_and_saveexec_b64 s[36:37], s[10:11]
	s_cbranch_execz .LBB2_58
; %bb.57:                               ;   in Loop: Header=BB2_26 Depth=1
	v_mul_f32_e32 v23, 0x4f800000, v19
	v_cmp_gt_f32_e32 vcc, s33, v19
	v_cndmask_b32_e32 v23, v19, v23, vcc
	v_sqrt_f32_e32 v24, v23
	v_add_u32_e32 v26, -1, v24
	v_fma_f32 v30, -v26, v24, v23
	v_add_u32_e32 v29, 1, v24
	v_cmp_ge_f32_e64 s[12:13], 0, v30
	v_cndmask_b32_e64 v26, v24, v26, s[12:13]
	v_fma_f32 v24, -v29, v24, v23
	v_cmp_lt_f32_e64 s[12:13], 0, v24
	v_cndmask_b32_e64 v24, v26, v29, s[12:13]
	v_mul_f32_e32 v26, 0x37800000, v24
	v_cndmask_b32_e32 v24, v24, v26, vcc
	v_cmp_class_f32_e32 vcc, v23, v12
	v_cndmask_b32_e32 v23, v24, v23, vcc
	v_div_scale_f32 v24, s[12:13], v34, v34, v23
	v_div_scale_f32 v26, vcc, v23, v34, v23
	v_rcp_f32_e32 v29, v24
	v_fma_f32 v30, -v24, v29, 1.0
	v_fmac_f32_e32 v29, v30, v29
	v_mul_f32_e32 v30, v26, v29
	v_fma_f32 v35, -v24, v30, v26
	v_fmac_f32_e32 v30, v35, v29
	v_fma_f32 v24, -v24, v30, v26
	v_div_fmas_f32 v24, v24, v29, v30
	v_mul_f32_e32 v26, v11, v25
	v_div_fixup_f32 v23, v24, v34, v23
	v_add_f32_e32 v29, v23, v33
	v_div_scale_f32 v23, s[12:13], v29, v29, v26
	v_div_scale_f32 v24, vcc, v26, v29, v26
	v_rcp_f32_e32 v30, v23
	v_fma_f32 v35, -v23, v30, 1.0
	v_fmac_f32_e32 v30, v35, v30
	v_mul_f32_e32 v35, v24, v30
	v_fma_f32 v36, -v23, v35, v24
	v_fmac_f32_e32 v35, v36, v30
	v_fma_f32 v23, -v23, v35, v24
	v_div_fmas_f32 v30, v23, v30, v35
	v_lshlrev_b64 v[23:24], 2, v[7:8]
	v_fma_f32 v35, -v10, v17, v17
	v_mov_b32_e32 v36, s15
	v_cndmask_b32_e64 v17, v17, v35, s[0:1]
	v_add_co_u32_e32 v23, vcc, s14, v23
	v_addc_co_u32_e32 v24, vcc, v36, v24, vcc
	v_div_fixup_f32 v26, v30, v29, v26
	v_sub_f32_e32 v17, v17, v26
	global_store_dword v[23:24], v17, off
.LBB2_58:                               ;   in Loop: Header=BB2_26 Depth=1
	s_or_b64 exec, exec, s[36:37]
	s_and_b64 vcc, exec, s[4:5]
	s_cbranch_vccnz .LBB2_65
; %bb.59:                               ;   in Loop: Header=BB2_26 Depth=1
	s_and_saveexec_b64 s[4:5], s[2:3]
	s_cbranch_execnz .LBB2_81
; %bb.60:                               ;   in Loop: Header=BB2_26 Depth=1
	s_or_b64 exec, exec, s[4:5]
	s_and_saveexec_b64 s[4:5], s[6:7]
	s_cbranch_execnz .LBB2_82
.LBB2_61:                               ;   in Loop: Header=BB2_26 Depth=1
	s_or_b64 exec, exec, s[4:5]
	s_and_saveexec_b64 s[4:5], s[8:9]
	s_cbranch_execnz .LBB2_83
.LBB2_62:                               ;   in Loop: Header=BB2_26 Depth=1
	s_or_b64 exec, exec, s[4:5]
	s_and_saveexec_b64 s[4:5], s[10:11]
	s_cbranch_execz .LBB2_64
.LBB2_63:                               ;   in Loop: Header=BB2_26 Depth=1
	v_lshlrev_b64 v[13:14], 2, v[7:8]
	v_mov_b32_e32 v15, s21
	v_add_co_u32_e32 v13, vcc, s20, v13
	v_addc_co_u32_e32 v14, vcc, v15, v14, vcc
	global_store_dword v[13:14], v16, off
.LBB2_64:                               ;   in Loop: Header=BB2_26 Depth=1
	s_or_b64 exec, exec, s[4:5]
.LBB2_65:                               ;   in Loop: Header=BB2_26 Depth=1
	s_and_saveexec_b64 s[4:5], s[2:3]
	s_cbranch_execnz .LBB2_73
; %bb.66:                               ;   in Loop: Header=BB2_26 Depth=1
	s_or_b64 exec, exec, s[4:5]
	s_and_saveexec_b64 s[4:5], s[6:7]
	s_cbranch_execnz .LBB2_74
.LBB2_67:                               ;   in Loop: Header=BB2_26 Depth=1
	s_or_b64 exec, exec, s[4:5]
	s_and_saveexec_b64 s[4:5], s[8:9]
	s_cbranch_execnz .LBB2_75
.LBB2_68:                               ;   in Loop: Header=BB2_26 Depth=1
	s_or_b64 exec, exec, s[4:5]
	s_and_saveexec_b64 s[4:5], s[10:11]
	s_cbranch_execnz .LBB2_76
.LBB2_69:                               ;   in Loop: Header=BB2_26 Depth=1
	s_or_b64 exec, exec, s[4:5]
	s_and_saveexec_b64 s[4:5], s[2:3]
	s_cbranch_execnz .LBB2_77
.LBB2_70:                               ;   in Loop: Header=BB2_26 Depth=1
	s_or_b64 exec, exec, s[4:5]
	s_and_saveexec_b64 s[2:3], s[6:7]
	s_cbranch_execnz .LBB2_78
.LBB2_71:                               ;   in Loop: Header=BB2_26 Depth=1
	s_or_b64 exec, exec, s[2:3]
	s_and_saveexec_b64 s[2:3], s[8:9]
	s_cbranch_execnz .LBB2_79
.LBB2_72:                               ;   in Loop: Header=BB2_26 Depth=1
	s_or_b64 exec, exec, s[2:3]
	s_and_saveexec_b64 s[2:3], s[10:11]
	s_cbranch_execz .LBB2_25
	s_branch .LBB2_80
.LBB2_73:                               ;   in Loop: Header=BB2_26 Depth=1
	v_lshlrev_b64 v[13:14], 2, v[1:2]
	v_mov_b32_e32 v15, s23
	v_add_co_u32_e32 v13, vcc, s22, v13
	v_addc_co_u32_e32 v14, vcc, v15, v14, vcc
	global_store_dword v[13:14], v21, off
	s_or_b64 exec, exec, s[4:5]
	s_and_saveexec_b64 s[4:5], s[6:7]
	s_cbranch_execz .LBB2_67
.LBB2_74:                               ;   in Loop: Header=BB2_26 Depth=1
	v_lshlrev_b64 v[13:14], 2, v[3:4]
	v_mov_b32_e32 v15, s23
	v_add_co_u32_e32 v13, vcc, s22, v13
	v_addc_co_u32_e32 v14, vcc, v15, v14, vcc
	global_store_dword v[13:14], v27, off
	s_or_b64 exec, exec, s[4:5]
	s_and_saveexec_b64 s[4:5], s[8:9]
	s_cbranch_execz .LBB2_68
.LBB2_75:                               ;   in Loop: Header=BB2_26 Depth=1
	v_lshlrev_b64 v[13:14], 2, v[5:6]
	v_mov_b32_e32 v15, s23
	v_add_co_u32_e32 v13, vcc, s22, v13
	v_addc_co_u32_e32 v14, vcc, v15, v14, vcc
	global_store_dword v[13:14], v28, off
	s_or_b64 exec, exec, s[4:5]
	s_and_saveexec_b64 s[4:5], s[10:11]
	s_cbranch_execz .LBB2_69
.LBB2_76:                               ;   in Loop: Header=BB2_26 Depth=1
	v_lshlrev_b64 v[13:14], 2, v[7:8]
	v_mov_b32_e32 v15, s23
	v_add_co_u32_e32 v13, vcc, s22, v13
	v_addc_co_u32_e32 v14, vcc, v15, v14, vcc
	global_store_dword v[13:14], v25, off
	s_or_b64 exec, exec, s[4:5]
	s_and_saveexec_b64 s[4:5], s[2:3]
	s_cbranch_execz .LBB2_70
.LBB2_77:                               ;   in Loop: Header=BB2_26 Depth=1
	v_lshlrev_b64 v[1:2], 2, v[1:2]
	v_mov_b32_e32 v13, s25
	v_add_co_u32_e32 v1, vcc, s24, v1
	v_addc_co_u32_e32 v2, vcc, v13, v2, vcc
	global_store_dword v[1:2], v18, off
	s_or_b64 exec, exec, s[4:5]
	s_and_saveexec_b64 s[2:3], s[6:7]
	s_cbranch_execz .LBB2_71
.LBB2_78:                               ;   in Loop: Header=BB2_26 Depth=1
	v_lshlrev_b64 v[1:2], 2, v[3:4]
	v_mov_b32_e32 v3, s25
	v_add_co_u32_e32 v1, vcc, s24, v1
	v_addc_co_u32_e32 v2, vcc, v3, v2, vcc
	global_store_dword v[1:2], v22, off
	s_or_b64 exec, exec, s[2:3]
	s_and_saveexec_b64 s[2:3], s[8:9]
	s_cbranch_execz .LBB2_72
.LBB2_79:                               ;   in Loop: Header=BB2_26 Depth=1
	v_lshlrev_b64 v[1:2], 2, v[5:6]
	v_mov_b32_e32 v3, s25
	v_add_co_u32_e32 v1, vcc, s24, v1
	v_addc_co_u32_e32 v2, vcc, v3, v2, vcc
	global_store_dword v[1:2], v20, off
	s_or_b64 exec, exec, s[2:3]
	s_and_saveexec_b64 s[2:3], s[10:11]
	s_cbranch_execz .LBB2_25
.LBB2_80:                               ;   in Loop: Header=BB2_26 Depth=1
	v_lshlrev_b64 v[1:2], 2, v[7:8]
	v_mov_b32_e32 v3, s25
	v_add_co_u32_e32 v1, vcc, s24, v1
	v_addc_co_u32_e32 v2, vcc, v3, v2, vcc
	global_store_dword v[1:2], v19, off
	s_branch .LBB2_25
.LBB2_81:                               ;   in Loop: Header=BB2_26 Depth=1
	v_lshlrev_b64 v[23:24], 2, v[1:2]
	v_mov_b32_e32 v17, s21
	v_add_co_u32_e32 v23, vcc, s20, v23
	v_addc_co_u32_e32 v24, vcc, v17, v24, vcc
	global_store_dword v[23:24], v13, off
	s_or_b64 exec, exec, s[4:5]
	s_and_saveexec_b64 s[4:5], s[6:7]
	s_cbranch_execz .LBB2_61
.LBB2_82:                               ;   in Loop: Header=BB2_26 Depth=1
	v_lshlrev_b64 v[23:24], 2, v[3:4]
	v_mov_b32_e32 v13, s21
	v_add_co_u32_e32 v23, vcc, s20, v23
	v_addc_co_u32_e32 v24, vcc, v13, v24, vcc
	global_store_dword v[23:24], v14, off
	s_or_b64 exec, exec, s[4:5]
	s_and_saveexec_b64 s[4:5], s[8:9]
	s_cbranch_execz .LBB2_62
.LBB2_83:                               ;   in Loop: Header=BB2_26 Depth=1
	v_lshlrev_b64 v[13:14], 2, v[5:6]
	v_mov_b32_e32 v17, s21
	v_add_co_u32_e32 v13, vcc, s20, v13
	v_addc_co_u32_e32 v14, vcc, v17, v14, vcc
	global_store_dword v[13:14], v15, off
	s_or_b64 exec, exec, s[4:5]
	s_and_saveexec_b64 s[4:5], s[10:11]
	s_cbranch_execnz .LBB2_63
	s_branch .LBB2_64
.LBB2_84:
	s_endpgm
	.section	.rodata,"a",@progbits
	.p2align	6, 0x0
	.amdhsa_kernel _ZN2at6native12_GLOBAL__N_125multi_tensor_apply_kernelINS1_32FusedOptimizerTensorListMetadataILi4EEENS1_20FusedAdamMathFunctorIfLi4ELNS0_9ADAM_MODEE1ELb0EEEJPKfdddddbS9_S9_EEEvT_T0_DpT1_
		.amdhsa_group_segment_fixed_size 0
		.amdhsa_private_segment_fixed_size 0
		.amdhsa_kernarg_size 3672
		.amdhsa_user_sgpr_count 6
		.amdhsa_user_sgpr_private_segment_buffer 1
		.amdhsa_user_sgpr_dispatch_ptr 0
		.amdhsa_user_sgpr_queue_ptr 0
		.amdhsa_user_sgpr_kernarg_segment_ptr 1
		.amdhsa_user_sgpr_dispatch_id 0
		.amdhsa_user_sgpr_flat_scratch_init 0
		.amdhsa_user_sgpr_private_segment_size 0
		.amdhsa_uses_dynamic_stack 0
		.amdhsa_system_sgpr_private_segment_wavefront_offset 0
		.amdhsa_system_sgpr_workgroup_id_x 1
		.amdhsa_system_sgpr_workgroup_id_y 0
		.amdhsa_system_sgpr_workgroup_id_z 0
		.amdhsa_system_sgpr_workgroup_info 0
		.amdhsa_system_vgpr_workitem_id 0
		.amdhsa_next_free_vgpr 46
		.amdhsa_next_free_sgpr 42
		.amdhsa_reserve_vcc 1
		.amdhsa_reserve_flat_scratch 0
		.amdhsa_float_round_mode_32 0
		.amdhsa_float_round_mode_16_64 0
		.amdhsa_float_denorm_mode_32 3
		.amdhsa_float_denorm_mode_16_64 3
		.amdhsa_dx10_clamp 1
		.amdhsa_ieee_mode 1
		.amdhsa_fp16_overflow 0
		.amdhsa_exception_fp_ieee_invalid_op 0
		.amdhsa_exception_fp_denorm_src 0
		.amdhsa_exception_fp_ieee_div_zero 0
		.amdhsa_exception_fp_ieee_overflow 0
		.amdhsa_exception_fp_ieee_underflow 0
		.amdhsa_exception_fp_ieee_inexact 0
		.amdhsa_exception_int_div_zero 0
	.end_amdhsa_kernel
	.section	.text._ZN2at6native12_GLOBAL__N_125multi_tensor_apply_kernelINS1_32FusedOptimizerTensorListMetadataILi4EEENS1_20FusedAdamMathFunctorIfLi4ELNS0_9ADAM_MODEE1ELb0EEEJPKfdddddbS9_S9_EEEvT_T0_DpT1_,"axG",@progbits,_ZN2at6native12_GLOBAL__N_125multi_tensor_apply_kernelINS1_32FusedOptimizerTensorListMetadataILi4EEENS1_20FusedAdamMathFunctorIfLi4ELNS0_9ADAM_MODEE1ELb0EEEJPKfdddddbS9_S9_EEEvT_T0_DpT1_,comdat
.Lfunc_end2:
	.size	_ZN2at6native12_GLOBAL__N_125multi_tensor_apply_kernelINS1_32FusedOptimizerTensorListMetadataILi4EEENS1_20FusedAdamMathFunctorIfLi4ELNS0_9ADAM_MODEE1ELb0EEEJPKfdddddbS9_S9_EEEvT_T0_DpT1_, .Lfunc_end2-_ZN2at6native12_GLOBAL__N_125multi_tensor_apply_kernelINS1_32FusedOptimizerTensorListMetadataILi4EEENS1_20FusedAdamMathFunctorIfLi4ELNS0_9ADAM_MODEE1ELb0EEEJPKfdddddbS9_S9_EEEvT_T0_DpT1_
                                        ; -- End function
	.set _ZN2at6native12_GLOBAL__N_125multi_tensor_apply_kernelINS1_32FusedOptimizerTensorListMetadataILi4EEENS1_20FusedAdamMathFunctorIfLi4ELNS0_9ADAM_MODEE1ELb0EEEJPKfdddddbS9_S9_EEEvT_T0_DpT1_.num_vgpr, 46
	.set _ZN2at6native12_GLOBAL__N_125multi_tensor_apply_kernelINS1_32FusedOptimizerTensorListMetadataILi4EEENS1_20FusedAdamMathFunctorIfLi4ELNS0_9ADAM_MODEE1ELb0EEEJPKfdddddbS9_S9_EEEvT_T0_DpT1_.num_agpr, 0
	.set _ZN2at6native12_GLOBAL__N_125multi_tensor_apply_kernelINS1_32FusedOptimizerTensorListMetadataILi4EEENS1_20FusedAdamMathFunctorIfLi4ELNS0_9ADAM_MODEE1ELb0EEEJPKfdddddbS9_S9_EEEvT_T0_DpT1_.numbered_sgpr, 42
	.set _ZN2at6native12_GLOBAL__N_125multi_tensor_apply_kernelINS1_32FusedOptimizerTensorListMetadataILi4EEENS1_20FusedAdamMathFunctorIfLi4ELNS0_9ADAM_MODEE1ELb0EEEJPKfdddddbS9_S9_EEEvT_T0_DpT1_.num_named_barrier, 0
	.set _ZN2at6native12_GLOBAL__N_125multi_tensor_apply_kernelINS1_32FusedOptimizerTensorListMetadataILi4EEENS1_20FusedAdamMathFunctorIfLi4ELNS0_9ADAM_MODEE1ELb0EEEJPKfdddddbS9_S9_EEEvT_T0_DpT1_.private_seg_size, 0
	.set _ZN2at6native12_GLOBAL__N_125multi_tensor_apply_kernelINS1_32FusedOptimizerTensorListMetadataILi4EEENS1_20FusedAdamMathFunctorIfLi4ELNS0_9ADAM_MODEE1ELb0EEEJPKfdddddbS9_S9_EEEvT_T0_DpT1_.uses_vcc, 1
	.set _ZN2at6native12_GLOBAL__N_125multi_tensor_apply_kernelINS1_32FusedOptimizerTensorListMetadataILi4EEENS1_20FusedAdamMathFunctorIfLi4ELNS0_9ADAM_MODEE1ELb0EEEJPKfdddddbS9_S9_EEEvT_T0_DpT1_.uses_flat_scratch, 0
	.set _ZN2at6native12_GLOBAL__N_125multi_tensor_apply_kernelINS1_32FusedOptimizerTensorListMetadataILi4EEENS1_20FusedAdamMathFunctorIfLi4ELNS0_9ADAM_MODEE1ELb0EEEJPKfdddddbS9_S9_EEEvT_T0_DpT1_.has_dyn_sized_stack, 0
	.set _ZN2at6native12_GLOBAL__N_125multi_tensor_apply_kernelINS1_32FusedOptimizerTensorListMetadataILi4EEENS1_20FusedAdamMathFunctorIfLi4ELNS0_9ADAM_MODEE1ELb0EEEJPKfdddddbS9_S9_EEEvT_T0_DpT1_.has_recursion, 0
	.set _ZN2at6native12_GLOBAL__N_125multi_tensor_apply_kernelINS1_32FusedOptimizerTensorListMetadataILi4EEENS1_20FusedAdamMathFunctorIfLi4ELNS0_9ADAM_MODEE1ELb0EEEJPKfdddddbS9_S9_EEEvT_T0_DpT1_.has_indirect_call, 0
	.section	.AMDGPU.csdata,"",@progbits
; Kernel info:
; codeLenInByte = 7668
; TotalNumSgprs: 46
; NumVgprs: 46
; ScratchSize: 0
; MemoryBound: 0
; FloatMode: 240
; IeeeMode: 1
; LDSByteSize: 0 bytes/workgroup (compile time only)
; SGPRBlocks: 5
; VGPRBlocks: 11
; NumSGPRsForWavesPerEU: 46
; NumVGPRsForWavesPerEU: 46
; Occupancy: 5
; WaveLimiterHint : 0
; COMPUTE_PGM_RSRC2:SCRATCH_EN: 0
; COMPUTE_PGM_RSRC2:USER_SGPR: 6
; COMPUTE_PGM_RSRC2:TRAP_HANDLER: 0
; COMPUTE_PGM_RSRC2:TGID_X_EN: 1
; COMPUTE_PGM_RSRC2:TGID_Y_EN: 0
; COMPUTE_PGM_RSRC2:TGID_Z_EN: 0
; COMPUTE_PGM_RSRC2:TIDIG_COMP_CNT: 0
	.section	.text._ZN2at6native12_GLOBAL__N_125multi_tensor_apply_kernelINS1_32FusedOptimizerTensorListMetadataILi4EEENS1_20FusedAdamMathFunctorIN3c104HalfELi4ELNS0_9ADAM_MODEE1ELb0EEEJPKfdddddbSB_SB_EEEvT_T0_DpT1_,"axG",@progbits,_ZN2at6native12_GLOBAL__N_125multi_tensor_apply_kernelINS1_32FusedOptimizerTensorListMetadataILi4EEENS1_20FusedAdamMathFunctorIN3c104HalfELi4ELNS0_9ADAM_MODEE1ELb0EEEJPKfdddddbSB_SB_EEEvT_T0_DpT1_,comdat
	.globl	_ZN2at6native12_GLOBAL__N_125multi_tensor_apply_kernelINS1_32FusedOptimizerTensorListMetadataILi4EEENS1_20FusedAdamMathFunctorIN3c104HalfELi4ELNS0_9ADAM_MODEE1ELb0EEEJPKfdddddbSB_SB_EEEvT_T0_DpT1_ ; -- Begin function _ZN2at6native12_GLOBAL__N_125multi_tensor_apply_kernelINS1_32FusedOptimizerTensorListMetadataILi4EEENS1_20FusedAdamMathFunctorIN3c104HalfELi4ELNS0_9ADAM_MODEE1ELb0EEEJPKfdddddbSB_SB_EEEvT_T0_DpT1_
	.p2align	8
	.type	_ZN2at6native12_GLOBAL__N_125multi_tensor_apply_kernelINS1_32FusedOptimizerTensorListMetadataILi4EEENS1_20FusedAdamMathFunctorIN3c104HalfELi4ELNS0_9ADAM_MODEE1ELb0EEEJPKfdddddbSB_SB_EEEvT_T0_DpT1_,@function
_ZN2at6native12_GLOBAL__N_125multi_tensor_apply_kernelINS1_32FusedOptimizerTensorListMetadataILi4EEENS1_20FusedAdamMathFunctorIN3c104HalfELi4ELNS0_9ADAM_MODEE1ELb0EEEJPKfdddddbSB_SB_EEEvT_T0_DpT1_: ; @_ZN2at6native12_GLOBAL__N_125multi_tensor_apply_kernelINS1_32FusedOptimizerTensorListMetadataILi4EEENS1_20FusedAdamMathFunctorIN3c104HalfELi4ELNS0_9ADAM_MODEE1ELb0EEEJPKfdddddbSB_SB_EEEvT_T0_DpT1_
; %bb.0:
	v_mov_b32_e32 v1, s6
	global_load_ubyte v1, v1, s[4:5] offset:1728
	s_load_dwordx4 s[20:23], s[4:5], 0xd30
	s_load_dwordx8 s[8:15], s[4:5], 0xd10
	s_add_u32 s0, s4, s6
	s_mul_hi_u32 s1, s6, 3
	s_mul_i32 s6, s6, 3
	s_addc_u32 s2, s5, 0
	s_add_u32 s0, s0, s6
	s_addc_u32 s1, s2, s1
	s_waitcnt lgkmcnt(0)
	s_cmp_eq_u64 s[8:9], 0
	s_mov_b64 s[2:3], 0
	s_waitcnt vmcnt(0)
	v_readfirstlane_b32 s6, v1
	s_cbranch_scc1 .LBB3_20
; %bb.1:
	s_load_dword s7, s[8:9], 0x0
	s_andn2_b64 vcc, exec, s[2:3]
	s_waitcnt lgkmcnt(0)
	v_mov_b32_e32 v25, s7
	s_cbranch_vccnz .LBB3_3
.LBB3_2:
	v_cvt_f32_f64_e32 v25, s[10:11]
.LBB3_3:
	s_load_dwordx4 s[16:19], s[4:5], 0xd48
	s_waitcnt lgkmcnt(0)
	s_cmp_eq_u64 s[18:19], 0
	s_cselect_b64 s[2:3], -1, 0
	s_and_b64 vcc, exec, s[2:3]
	s_cbranch_vccnz .LBB3_5
; %bb.4:
	s_load_dword s2, s[18:19], 0x0
	s_waitcnt lgkmcnt(0)
	v_cmp_neq_f32_e64 s[2:3], s2, 1.0
.LBB3_5:
	s_andn2_b64 vcc, exec, s[2:3]
	s_cbranch_vccnz .LBB3_84
; %bb.6:
	s_load_dword s2, s[4:5], 0xd40
	v_cvt_f32_f64_e32 v21, s[12:13]
	s_mov_b32 s11, 0x3f2aaaab
	v_mov_b32_e32 v11, 0x3ecccdef
	v_cvt_f32_f64_e32 v22, s[14:15]
	s_waitcnt lgkmcnt(0)
	s_bitcmp1_b32 s2, 0
	s_cselect_b64 s[18:19], -1, 0
	s_and_b32 s2, s6, 0xff
	s_lshl_b32 s24, s2, 3
	s_load_dwordx2 s[2:3], s[4:5], s24 offset:0x5a0
	s_load_dword s8, s[0:1], 0x800
	s_load_dwordx2 s[6:7], s[4:5], s24 offset:0x480
	v_cmp_neq_f32_e32 vcc, 1.0, v21
	s_mov_b32 s14, 0x3f317218
	s_waitcnt lgkmcnt(0)
	s_load_dword s0, s[2:3], 0x0
	s_movk_i32 s9, 0x204
	s_mov_b32 s10, 0x42b17218
	s_mov_b32 s25, 0x3fb8aa3b
	;; [unrolled: 1-line block ×3, first 2 shown]
	s_waitcnt lgkmcnt(0)
	v_mov_b32_e32 v5, s0
	v_cndmask_b32_e32 v1, 1.0, v5, vcc
	v_cmp_neq_f32_e32 vcc, 0, v1
	v_cndmask_b32_e32 v2, 1.0, v21, vcc
	v_frexp_mant_f32_e64 v3, |v2|
	v_cmp_gt_f32_e32 vcc, s11, v3
	v_cndmask_b32_e64 v4, 1.0, 2.0, vcc
	v_mul_f32_e32 v3, v3, v4
	v_add_f32_e32 v4, 1.0, v3
	v_rcp_f32_e32 v6, v4
	v_add_f32_e32 v7, -1.0, v3
	v_add_f32_e32 v8, -1.0, v4
	v_sub_f32_e32 v3, v3, v8
	v_mul_f32_e32 v8, v7, v6
	v_mul_f32_e32 v9, v4, v8
	v_fma_f32 v4, v8, v4, -v9
	v_fmac_f32_e32 v4, v8, v3
	v_add_f32_e32 v3, v9, v4
	v_sub_f32_e32 v10, v7, v3
	v_sub_f32_e32 v9, v3, v9
	;; [unrolled: 1-line block ×5, first 2 shown]
	v_add_f32_e32 v3, v4, v3
	v_add_f32_e32 v3, v10, v3
	v_mul_f32_e32 v3, v6, v3
	v_add_f32_e32 v6, v8, v3
	v_sub_f32_e32 v4, v6, v8
	v_mul_f32_e32 v7, v6, v6
	v_sub_f32_e32 v8, v3, v4
	v_fma_f32 v3, v6, v6, -v7
	v_add_f32_e32 v4, v8, v8
	v_fmac_f32_e32 v3, v6, v4
	v_add_f32_e32 v4, v7, v3
	v_sub_f32_e32 v7, v4, v7
	v_sub_f32_e32 v3, v3, v7
	v_mul_f32_e32 v7, v6, v4
	v_fma_f32 v12, v4, v6, -v7
	v_fmac_f32_e32 v12, v4, v8
	v_mov_b32_e32 v10, 0x3e91f4c4
	v_fmac_f32_e32 v12, v3, v6
	v_fmac_f32_e32 v10, 0x3e76c4e1, v4
	v_add_f32_e32 v13, v7, v12
	v_fma_f32 v10, v4, v10, v11
	v_sub_f32_e32 v7, v13, v7
	v_sub_f32_e32 v7, v12, v7
	v_mul_f32_e32 v12, v4, v10
	v_fma_f32 v4, v4, v10, -v12
	v_fmac_f32_e32 v4, v3, v10
	v_add_f32_e32 v10, v12, v4
	v_sub_f32_e32 v3, v10, v12
	v_sub_f32_e32 v12, v4, v3
	v_cvt_f64_f32_e64 v[3:4], |v2|
	v_add_f32_e32 v14, 0x3f2aaaaa, v10
	v_add_f32_e32 v15, 0xbf2aaaaa, v14
	;; [unrolled: 1-line block ×3, first 2 shown]
	v_frexp_exp_i32_f64_e32 v3, v[3:4]
	v_sub_f32_e32 v10, v10, v15
	v_add_f32_e32 v4, v12, v10
	v_add_f32_e32 v10, v14, v4
	v_sub_f32_e32 v12, v14, v10
	v_add_f32_e32 v4, v4, v12
	v_mul_f32_e32 v12, v13, v10
	v_fma_f32 v14, v13, v10, -v12
	v_subbrev_co_u32_e32 v3, vcc, 0, v3, vcc
	v_cvt_f32_i32_e32 v3, v3
	v_fmac_f32_e32 v14, v13, v4
	v_fmac_f32_e32 v14, v7, v10
	v_ldexp_f32 v6, v6, 1
	v_mul_f32_e32 v4, 0x3f317218, v3
	v_fma_f32 v7, v3, s14, -v4
	v_fmac_f32_e32 v7, 0xb102e308, v3
	v_ldexp_f32 v3, v8, 1
	v_add_f32_e32 v8, v4, v7
	v_sub_f32_e32 v4, v8, v4
	v_sub_f32_e32 v4, v7, v4
	v_add_f32_e32 v7, v12, v14
	v_sub_f32_e32 v10, v7, v12
	v_add_f32_e32 v12, v6, v7
	v_sub_f32_e32 v10, v14, v10
	v_sub_f32_e32 v6, v12, v6
	;; [unrolled: 1-line block ×3, first 2 shown]
	v_add_f32_e32 v3, v3, v10
	v_add_f32_e32 v3, v3, v6
	;; [unrolled: 1-line block ×3, first 2 shown]
	v_sub_f32_e32 v7, v6, v12
	v_sub_f32_e32 v3, v3, v7
	v_add_f32_e32 v7, v8, v6
	v_sub_f32_e32 v10, v7, v8
	v_sub_f32_e32 v12, v7, v10
	;; [unrolled: 1-line block ×4, first 2 shown]
	v_add_f32_e32 v6, v6, v8
	v_add_f32_e32 v8, v4, v3
	v_sub_f32_e32 v10, v8, v4
	v_sub_f32_e32 v12, v8, v10
	;; [unrolled: 1-line block ×4, first 2 shown]
	v_add_f32_e32 v3, v3, v4
	v_add_f32_e32 v4, v8, v6
	;; [unrolled: 1-line block ×3, first 2 shown]
	v_sub_f32_e32 v7, v6, v7
	v_sub_f32_e32 v4, v4, v7
	v_add_f32_e32 v3, v3, v4
	v_add_f32_e32 v4, v6, v3
	v_sub_f32_e32 v6, v4, v6
	v_sub_f32_e32 v3, v3, v6
	v_mul_f32_e32 v6, v1, v4
	v_fma_f32 v4, v1, v4, -v6
	v_fmac_f32_e32 v4, v1, v3
	v_add_f32_e32 v3, v6, v4
	v_cmp_class_f32_e64 vcc, v6, s9
	v_sub_f32_e32 v7, v3, v6
	v_cndmask_b32_e32 v3, v3, v6, vcc
	v_mov_b32_e32 v6, 0x37000000
	v_cmp_eq_f32_e32 vcc, s10, v3
	v_sub_f32_e32 v4, v4, v7
	v_cndmask_b32_e32 v7, 0, v6, vcc
	v_sub_f32_e32 v8, v3, v7
	v_mul_f32_e32 v10, 0x3fb8aa3b, v8
	v_fma_f32 v12, v8, s25, -v10
	v_rndne_f32_e32 v13, v10
	v_fmac_f32_e32 v12, 0x32a5705f, v8
	v_sub_f32_e32 v10, v10, v13
	v_add_f32_e32 v10, v10, v12
	v_exp_f32_e32 v10, v10
	v_cvt_i32_f32_e32 v12, v13
	v_cmp_neq_f32_e64 vcc, |v3|, s15
	s_mov_b32 s26, 0xc2ce8ed0
	v_cndmask_b32_e32 v3, 0, v4, vcc
	v_ldexp_f32 v4, v10, v12
	v_cmp_ngt_f32_e32 vcc, s26, v8
	v_add_f32_e32 v3, v7, v3
	v_cndmask_b32_e32 v4, 0, v4, vcc
	v_mov_b32_e32 v7, 0x7f800000
	v_cmp_nlt_f32_e32 vcc, s10, v8
	v_cndmask_b32_e32 v4, v7, v4, vcc
	v_fma_f32 v3, v4, v3, v4
	v_cmp_class_f32_e64 vcc, v4, s9
	v_cndmask_b32_e32 v3, v3, v4, vcc
	v_trunc_f32_e32 v4, v1
	v_cmp_eq_f32_e32 vcc, v4, v1
	v_mul_f32_e32 v4, 0.5, v1
	v_trunc_f32_e32 v10, v4
	v_cmp_neq_f32_e64 s[0:1], v10, v4
	s_and_b64 s[0:1], vcc, s[0:1]
	v_cndmask_b32_e64 v4, 1.0, v2, s[0:1]
	s_brev_b32 s27, -2
	v_mov_b32_e32 v8, 0x7fc00000
	v_bfi_b32 v3, s27, v3, v4
	v_cmp_neq_f32_e64 s[2:3], v1, |v1|
	v_cmp_lt_f32_e64 s[12:13], |v2|, 1.0
	v_cndmask_b32_e32 v4, v8, v3, vcc
	v_cmp_gt_f32_e32 vcc, 0, v2
	s_xor_b64 s[2:3], s[2:3], s[12:13]
	v_cndmask_b32_e32 v3, v3, v4, vcc
	v_cndmask_b32_e64 v4, v7, 0, s[2:3]
	v_cmp_neq_f32_e64 vcc, |v2|, 1.0
	v_cndmask_b32_e32 v4, 1.0, v4, vcc
	v_cmp_class_f32_e64 vcc, v1, s9
	v_cndmask_b32_e32 v3, v3, v4, vcc
	v_cmp_eq_f32_e32 vcc, 0, v2
	v_cmp_gt_f32_e64 s[2:3], 0, v1
	s_xor_b64 s[2:3], s[2:3], vcc
	v_cmp_class_f32_e64 s[12:13], v2, s9
	v_cndmask_b32_e64 v4, v7, 0, s[2:3]
	v_cndmask_b32_e64 v10, 0, v2, s[0:1]
	v_bfi_b32 v4, s27, v4, v10
	s_or_b64 vcc, vcc, s[12:13]
	v_cndmask_b32_e32 v10, v3, v4, vcc
	v_cmp_neq_f32_e32 vcc, 1.0, v22
	v_cndmask_b32_e32 v5, 1.0, v5, vcc
	v_cmp_neq_f32_e32 vcc, 0, v5
	v_cndmask_b32_e32 v12, 1.0, v22, vcc
	v_frexp_mant_f32_e64 v3, |v12|
	v_cmp_gt_f32_e32 vcc, s11, v3
	v_cndmask_b32_e64 v4, 1.0, 2.0, vcc
	v_mul_f32_e32 v3, v3, v4
	v_add_f32_e32 v4, 1.0, v3
	v_rcp_f32_e32 v13, v4
	v_add_f32_e32 v14, -1.0, v3
	v_add_f32_e32 v15, -1.0, v4
	v_sub_f32_e32 v3, v3, v15
	v_mul_f32_e32 v15, v14, v13
	v_mul_f32_e32 v16, v4, v15
	v_fma_f32 v4, v15, v4, -v16
	v_fmac_f32_e32 v4, v15, v3
	v_add_f32_e32 v3, v16, v4
	v_sub_f32_e32 v17, v14, v3
	v_sub_f32_e32 v16, v3, v16
	;; [unrolled: 1-line block ×5, first 2 shown]
	v_add_f32_e32 v3, v4, v3
	v_add_f32_e32 v3, v17, v3
	v_mul_f32_e32 v3, v13, v3
	v_add_f32_e32 v13, v15, v3
	v_sub_f32_e32 v4, v13, v15
	v_sub_f32_e32 v14, v3, v4
	v_mul_f32_e32 v3, v13, v13
	v_fma_f32 v4, v13, v13, -v3
	v_add_f32_e32 v15, v14, v14
	v_fmac_f32_e32 v4, v13, v15
	v_mov_b32_e32 v9, 0x3e91f4c4
	v_add_f32_e32 v15, v3, v4
	v_fmac_f32_e32 v9, 0x3e76c4e1, v15
	v_fmac_f32_e32 v11, v15, v9
	v_sub_f32_e32 v3, v15, v3
	v_mul_f32_e32 v9, v13, v15
	v_sub_f32_e32 v3, v4, v3
	v_fma_f32 v16, v15, v13, -v9
	v_mul_f32_e32 v4, v15, v11
	v_fmac_f32_e32 v16, v15, v14
	v_fma_f32 v15, v15, v11, -v4
	v_fmac_f32_e32 v15, v3, v11
	v_fmac_f32_e32 v16, v3, v13
	v_add_f32_e32 v3, v4, v15
	v_add_f32_e32 v11, 0x3f2aaaaa, v3
	v_sub_f32_e32 v4, v3, v4
	v_sub_f32_e32 v4, v15, v4
	v_add_f32_e32 v15, 0xbf2aaaaa, v11
	v_add_f32_e32 v4, 0x31739010, v4
	v_sub_f32_e32 v3, v3, v15
	v_add_f32_e32 v15, v4, v3
	v_cvt_f64_f32_e64 v[3:4], |v12|
	v_add_f32_e32 v17, v9, v16
	v_add_f32_e32 v18, v11, v15
	v_sub_f32_e32 v11, v11, v18
	v_frexp_exp_i32_f64_e32 v3, v[3:4]
	v_mul_f32_e32 v4, v17, v18
	v_add_f32_e32 v11, v15, v11
	v_fma_f32 v15, v17, v18, -v4
	v_sub_f32_e32 v9, v17, v9
	v_fmac_f32_e32 v15, v17, v11
	v_sub_f32_e32 v9, v16, v9
	v_fmac_f32_e32 v15, v9, v18
	v_subbrev_co_u32_e32 v3, vcc, 0, v3, vcc
	v_cvt_f32_i32_e32 v3, v3
	v_ldexp_f32 v13, v13, 1
	v_cmp_neq_f32_e64 s[2:3], v5, |v5|
	v_cvt_f32_f64_e32 v23, s[22:23]
	v_mul_f32_e32 v9, 0x3f317218, v3
	v_fma_f32 v11, v3, s14, -v9
	v_fmac_f32_e32 v11, 0xb102e308, v3
	v_ldexp_f32 v3, v14, 1
	v_add_f32_e32 v14, v9, v11
	v_sub_f32_e32 v9, v14, v9
	v_sub_f32_e32 v9, v11, v9
	v_add_f32_e32 v11, v4, v15
	v_sub_f32_e32 v4, v11, v4
	v_sub_f32_e32 v4, v15, v4
	;; [unrolled: 3-line block ×3, first 2 shown]
	v_add_f32_e32 v3, v3, v4
	v_add_f32_e32 v3, v3, v11
	;; [unrolled: 1-line block ×3, first 2 shown]
	v_sub_f32_e32 v11, v4, v15
	v_sub_f32_e32 v3, v3, v11
	v_add_f32_e32 v11, v14, v4
	v_sub_f32_e32 v13, v11, v14
	v_sub_f32_e32 v15, v11, v13
	;; [unrolled: 1-line block ×4, first 2 shown]
	v_add_f32_e32 v13, v9, v3
	v_add_f32_e32 v4, v4, v14
	v_sub_f32_e32 v14, v13, v9
	v_sub_f32_e32 v15, v13, v14
	;; [unrolled: 1-line block ×4, first 2 shown]
	v_add_f32_e32 v4, v13, v4
	v_add_f32_e32 v3, v3, v9
	;; [unrolled: 1-line block ×3, first 2 shown]
	v_sub_f32_e32 v11, v9, v11
	v_sub_f32_e32 v4, v4, v11
	v_add_f32_e32 v3, v3, v4
	v_add_f32_e32 v4, v9, v3
	v_sub_f32_e32 v9, v4, v9
	v_sub_f32_e32 v3, v3, v9
	v_mul_f32_e32 v9, v5, v4
	v_fma_f32 v4, v5, v4, -v9
	v_fmac_f32_e32 v4, v5, v3
	v_add_f32_e32 v3, v9, v4
	v_cmp_class_f32_e64 vcc, v9, s9
	v_sub_f32_e32 v11, v3, v9
	v_cndmask_b32_e32 v3, v3, v9, vcc
	v_cmp_eq_f32_e32 vcc, s10, v3
	v_cndmask_b32_e32 v6, 0, v6, vcc
	v_sub_f32_e32 v9, v3, v6
	v_sub_f32_e32 v4, v4, v11
	v_mul_f32_e32 v11, 0x3fb8aa3b, v9
	v_fma_f32 v13, v9, s25, -v11
	v_rndne_f32_e32 v14, v11
	v_fmac_f32_e32 v13, 0x32a5705f, v9
	v_sub_f32_e32 v11, v11, v14
	v_add_f32_e32 v11, v11, v13
	v_exp_f32_e32 v11, v11
	v_cvt_i32_f32_e32 v13, v14
	v_cmp_neq_f32_e64 vcc, |v3|, s15
	v_cndmask_b32_e32 v3, 0, v4, vcc
	v_cmp_ngt_f32_e32 vcc, s26, v9
	v_ldexp_f32 v4, v11, v13
	v_cndmask_b32_e32 v4, 0, v4, vcc
	v_cmp_nlt_f32_e32 vcc, s10, v9
	v_add_f32_e32 v3, v6, v3
	v_cndmask_b32_e32 v4, v7, v4, vcc
	v_fma_f32 v3, v4, v3, v4
	v_cmp_class_f32_e64 vcc, v4, s9
	v_cndmask_b32_e32 v3, v3, v4, vcc
	v_trunc_f32_e32 v4, v5
	v_cmp_eq_f32_e32 vcc, v4, v5
	v_mul_f32_e32 v4, 0.5, v5
	v_trunc_f32_e32 v6, v4
	v_cmp_neq_f32_e64 s[0:1], v6, v4
	s_and_b64 s[0:1], vcc, s[0:1]
	v_cndmask_b32_e64 v4, 1.0, v12, s[0:1]
	v_bfi_b32 v3, s27, v3, v4
	v_cmp_lt_f32_e64 s[10:11], |v12|, 1.0
	v_cndmask_b32_e32 v4, v8, v3, vcc
	v_cmp_gt_f32_e32 vcc, 0, v12
	s_xor_b64 s[2:3], s[2:3], s[10:11]
	v_cndmask_b32_e32 v3, v3, v4, vcc
	v_cndmask_b32_e64 v4, v7, 0, s[2:3]
	v_cmp_neq_f32_e64 vcc, |v12|, 1.0
	v_cndmask_b32_e32 v4, 1.0, v4, vcc
	v_cmp_class_f32_e64 vcc, v5, s9
	v_cndmask_b32_e32 v3, v3, v4, vcc
	v_cmp_eq_f32_e32 vcc, 0, v12
	v_cmp_gt_f32_e64 s[2:3], 0, v5
	s_xor_b64 s[2:3], s[2:3], vcc
	v_cmp_class_f32_e64 s[10:11], v12, s9
	v_cndmask_b32_e64 v4, v7, 0, s[2:3]
	v_cndmask_b32_e64 v6, 0, v12, s[0:1]
	v_bfi_b32 v4, s27, v4, v6
	s_or_b64 vcc, vcc, s[10:11]
	v_cndmask_b32_e32 v3, v3, v4, vcc
	v_sub_f32_e32 v3, 1.0, v3
	v_cmp_o_f32_e32 vcc, v12, v5
	v_cndmask_b32_e32 v3, v8, v3, vcc
	s_mov_b32 s0, 0xf800000
	v_mul_f32_e32 v4, 0x4f800000, v3
	v_cmp_gt_f32_e32 vcc, s0, v3
	v_cndmask_b32_e32 v3, v3, v4, vcc
	v_sqrt_f32_e32 v4, v3
	v_cmp_o_f32_e64 s[0:1], v2, v1
	v_sub_f32_e32 v5, 1.0, v10
	v_cndmask_b32_e64 v27, v8, v5, s[0:1]
	v_add_u32_e32 v1, -1, v4
	v_fma_f32 v2, -v1, v4, v3
	v_cmp_ge_f32_e64 s[0:1], 0, v2
	v_add_u32_e32 v2, 1, v4
	v_cndmask_b32_e64 v1, v4, v1, s[0:1]
	v_fma_f32 v4, -v2, v4, v3
	s_load_dwordx2 s[10:11], s[4:5], s24 offset:0x0
	v_cmp_lt_f32_e64 s[0:1], 0, v4
	s_ashr_i32 s9, s8, 31
	v_cndmask_b32_e64 v1, v1, v2, s[0:1]
	s_lshl_b64 s[0:1], s[8:9], 16
	s_sub_u32 s22, s6, s0
	s_subb_u32 s23, s7, s1
	s_lshl_b64 s[14:15], s[8:9], 17
	s_load_dwordx2 s[12:13], s[4:5], s24 offset:0x120
	s_load_dwordx2 s[30:31], s[4:5], s24 offset:0x240
	;; [unrolled: 1-line block ×3, first 2 shown]
	s_waitcnt lgkmcnt(0)
	s_add_u32 s33, s10, s14
	v_cvt_f32_f64_e32 v26, s[20:21]
	s_addc_u32 s34, s11, s15
	s_and_b32 s20, s33, 7
	s_mov_b32 s21, 0
	s_add_u32 s35, s12, s14
	s_addc_u32 s36, s13, s15
	s_and_b32 s0, s35, 7
	s_mov_b32 s1, s21
	s_cmp_lg_u64 s[0:1], 0
	s_cselect_b64 s[0:1], -1, 0
	s_add_u32 s37, s30, s14
	s_addc_u32 s38, s31, s15
	s_add_u32 s39, s28, s14
	s_addc_u32 s40, s29, s15
	s_or_b32 s2, s39, s37
	s_and_b32 s2, s2, 7
	s_cmp_lg_u32 s2, 0
	s_cselect_b64 s[2:3], -1, 0
	s_or_b64 s[0:1], s[2:3], s[0:1]
	s_and_b32 s2, s6, 3
	s_mov_b32 s3, s21
	s_or_b64 s[2:3], s[20:21], s[2:3]
	v_mul_f32_e32 v2, 0x37800000, v1
	s_cmp_lg_u64 s[2:3], 0
	v_cndmask_b32_e32 v1, v1, v2, vcc
	v_mov_b32_e32 v2, 0x260
	s_cselect_b64 s[2:3], -1, 0
	v_cmp_class_f32_e32 vcc, v3, v2
	s_or_b64 s[0:1], s[0:1], s[2:3]
	v_cndmask_b32_e32 v24, v1, v3, vcc
	s_andn2_b64 vcc, exec, s[0:1]
	s_mov_b64 s[0:1], -1
	s_cbranch_vccz .LBB3_22
; %bb.7:
	v_mov_b32_e32 v1, 0x10000
	v_mov_b32_e32 v2, 0
	v_cmp_lt_i64_e32 vcc, s[22:23], v[1:2]
	v_mov_b32_e32 v2, 0
	s_and_b64 s[0:1], vcc, exec
	s_cselect_b32 s21, s23, 0
	s_cselect_b32 s20, s22, 0x10000
	v_lshlrev_b32_e32 v1, 2, v0
	v_cmp_gt_i64_e32 vcc, s[20:21], v[1:2]
	s_and_saveexec_b64 s[24:25], vcc
	s_cbranch_execz .LBB3_21
; %bb.8:
	v_div_scale_f32 v1, s[0:1], v27, v27, v25
	v_div_scale_f32 v3, vcc, v25, v27, v25
	s_load_dword s6, s[4:5], 0xd64
	s_cmp_lg_u64 s[16:17], 0
	s_cselect_b64 s[2:3], -1, 0
	s_mov_b64 s[26:27], 0
	v_cmp_neq_f32_e64 s[0:1], 0, v26
	s_waitcnt lgkmcnt(0)
	s_and_b32 s42, s6, 0xffff
	v_mul_f32_e32 v28, v25, v26
	v_lshlrev_b32_e32 v29, 3, v0
	s_mov_b32 s41, 0xf800000
	v_mov_b32_e32 v30, 0x260
	s_lshl_b32 s43, s42, 3
	v_rcp_f32_e32 v4, v1
	v_fma_f32 v5, -v1, v4, 1.0
	v_fmac_f32_e32 v4, v5, v4
	v_mul_f32_e32 v5, v3, v4
	v_fma_f32 v6, -v1, v5, v3
	v_fmac_f32_e32 v5, v6, v4
	v_fma_f32 v1, -v1, v5, v3
	v_div_fmas_f32 v3, v1, v4, v5
	v_mov_b32_e32 v1, v2
	v_cndmask_b32_e64 v4, 0, 1, s[2:3]
	v_cmp_ne_u32_e64 s[2:3], 1, v4
	v_div_fixup_f32 v31, v3, v27, v25
	v_mov_b32_e32 v4, v1
	v_mov_b32_e32 v3, v0
	s_branch .LBB3_10
.LBB3_9:                                ;   in Loop: Header=BB3_10 Depth=1
	v_cvt_f16_f32_e32 v1, v16
	v_cvt_f16_f32_e32 v9, v35
	;; [unrolled: 1-line block ×4, first 2 shown]
	s_add_u32 s39, s39, s43
	s_addc_u32 s40, s40, 0
	v_add_co_u32_e32 v3, vcc, s42, v3
	s_add_u32 s33, s33, s43
	v_pack_b32_f16 v10, v9, v1
	v_pack_b32_f16 v9, v14, v13
	v_addc_co_u32_e32 v4, vcc, 0, v4, vcc
	s_addc_u32 s34, s34, 0
	v_cvt_f16_f32_e32 v11, v18
	v_cvt_f16_f32_e32 v12, v33
	;; [unrolled: 1-line block ×4, first 2 shown]
	global_store_dwordx2 v[7:8], v[9:10], off
	v_lshlrev_b64 v[9:10], 2, v[3:4]
	s_add_u32 s37, s37, s43
	s_addc_u32 s38, s38, 0
	s_add_u32 s35, s35, s43
	v_cmp_le_i64_e32 vcc, s[20:21], v[9:10]
	s_addc_u32 s36, s36, 0
	v_pack_b32_f16 v8, v12, v11
	v_pack_b32_f16 v7, v16, v15
	s_or_b64 s[26:27], vcc, s[26:27]
	global_store_dwordx2 v[5:6], v[7:8], off
	s_andn2_b64 exec, exec, s[26:27]
	s_cbranch_execz .LBB3_21
.LBB3_10:                               ; =>This Inner Loop Header: Depth=1
	v_mov_b32_e32 v1, s34
	v_add_co_u32_e32 v11, vcc, s33, v29
	v_addc_co_u32_e32 v12, vcc, 0, v1, vcc
	v_mov_b32_e32 v1, s36
	v_add_co_u32_e32 v9, vcc, s35, v29
	v_addc_co_u32_e32 v10, vcc, 0, v1, vcc
	global_load_dwordx2 v[19:20], v[9:10], off
	v_mov_b32_e32 v1, s38
	v_add_co_u32_e32 v7, vcc, s37, v29
	v_addc_co_u32_e32 v8, vcc, 0, v1, vcc
	v_mov_b32_e32 v1, s40
	v_add_co_u32_e32 v5, vcc, s39, v29
	v_addc_co_u32_e32 v6, vcc, 0, v1, vcc
	global_load_dwordx2 v[13:14], v[11:12], off
	global_load_dwordx2 v[15:16], v[7:8], off
	global_load_dwordx2 v[17:18], v[5:6], off
	s_and_b64 vcc, exec, s[2:3]
	s_waitcnt vmcnt(3)
	v_cvt_f32_f16_e32 v1, v19
	s_cbranch_vccnz .LBB3_12
; %bb.11:                               ;   in Loop: Header=BB3_10 Depth=1
	global_load_dword v32, v2, s[16:17]
	s_waitcnt vmcnt(0)
	v_div_scale_f32 v33, s[6:7], v32, v32, v1
	v_div_scale_f32 v34, vcc, v1, v32, v1
	v_rcp_f32_e32 v35, v33
	v_fma_f32 v36, -v33, v35, 1.0
	v_fmac_f32_e32 v35, v36, v35
	v_mul_f32_e32 v36, v34, v35
	v_fma_f32 v37, -v33, v36, v34
	v_fmac_f32_e32 v36, v37, v35
	v_fma_f32 v33, -v33, v36, v34
	v_div_fmas_f32 v33, v33, v35, v36
	v_div_fixup_f32 v1, v33, v32, v1
.LBB3_12:                               ;   in Loop: Header=BB3_10 Depth=1
	v_cvt_f32_f16_sdwa v19, v19 dst_sel:DWORD dst_unused:UNUSED_PAD src0_sel:WORD_1
	s_and_b64 vcc, exec, s[2:3]
	s_cbranch_vccnz .LBB3_14
; %bb.13:                               ;   in Loop: Header=BB3_10 Depth=1
	global_load_dword v32, v2, s[16:17]
	s_waitcnt vmcnt(0)
	v_div_scale_f32 v33, s[6:7], v32, v32, v19
	v_div_scale_f32 v34, vcc, v19, v32, v19
	v_rcp_f32_e32 v35, v33
	v_fma_f32 v36, -v33, v35, 1.0
	v_fmac_f32_e32 v35, v36, v35
	v_mul_f32_e32 v36, v34, v35
	v_fma_f32 v37, -v33, v36, v34
	v_fmac_f32_e32 v36, v37, v35
	v_fma_f32 v33, -v33, v36, v34
	v_div_fmas_f32 v33, v33, v35, v36
	v_div_fixup_f32 v19, v33, v32, v19
.LBB3_14:                               ;   in Loop: Header=BB3_10 Depth=1
	v_cvt_f32_f16_e32 v32, v20
	s_and_b64 vcc, exec, s[2:3]
	s_cbranch_vccnz .LBB3_16
; %bb.15:                               ;   in Loop: Header=BB3_10 Depth=1
	global_load_dword v33, v2, s[16:17]
	s_waitcnt vmcnt(0)
	v_div_scale_f32 v34, s[6:7], v33, v33, v32
	v_div_scale_f32 v35, vcc, v32, v33, v32
	v_rcp_f32_e32 v36, v34
	v_fma_f32 v37, -v34, v36, 1.0
	v_fmac_f32_e32 v36, v37, v36
	v_mul_f32_e32 v37, v35, v36
	v_fma_f32 v38, -v34, v37, v35
	v_fmac_f32_e32 v37, v38, v36
	v_fma_f32 v34, -v34, v37, v35
	v_div_fmas_f32 v34, v34, v36, v37
	v_div_fixup_f32 v32, v34, v33, v32
.LBB3_16:                               ;   in Loop: Header=BB3_10 Depth=1
	v_cvt_f32_f16_sdwa v20, v20 dst_sel:DWORD dst_unused:UNUSED_PAD src0_sel:WORD_1
	s_and_b64 vcc, exec, s[2:3]
	s_cbranch_vccnz .LBB3_18
; %bb.17:                               ;   in Loop: Header=BB3_10 Depth=1
	global_load_dword v33, v2, s[16:17]
	s_waitcnt vmcnt(0)
	v_div_scale_f32 v34, s[6:7], v33, v33, v20
	v_div_scale_f32 v35, vcc, v20, v33, v20
	v_rcp_f32_e32 v36, v34
	v_fma_f32 v37, -v34, v36, 1.0
	v_fmac_f32_e32 v36, v37, v36
	v_mul_f32_e32 v37, v35, v36
	v_fma_f32 v38, -v34, v37, v35
	v_fmac_f32_e32 v37, v38, v36
	v_fma_f32 v34, -v34, v37, v35
	v_div_fmas_f32 v34, v34, v36, v37
	v_div_fixup_f32 v20, v34, v33, v20
.LBB3_18:                               ;   in Loop: Header=BB3_10 Depth=1
	v_cndmask_b32_e64 v34, v32, -v32, s[18:19]
	v_mul_f32_e32 v33, v34, v34
	v_fma_f32 v33, -v22, v33, v33
	s_waitcnt vmcnt(0)
	v_fma_mix_f32 v33, v22, v18, v33 op_sel_hi:[0,1,0]
	v_mul_f32_e32 v35, 0x4f800000, v33
	v_cmp_gt_f32_e32 vcc, s41, v33
	v_cndmask_b32_e32 v35, v33, v35, vcc
	v_sqrt_f32_e32 v36, v35
	v_fma_f32 v34, -v21, v34, v34
	v_cvt_f32_f16_e32 v56, v13
	v_fma_mix_f32 v55, -v28, v13, v13 op_sel:[0,1,1] op_sel_hi:[0,1,1]
	v_add_u32_e32 v37, -1, v36
	v_fma_f32 v39, -v37, v36, v35
	v_add_u32_e32 v38, 1, v36
	v_cmp_ge_f32_e64 s[6:7], 0, v39
	v_cndmask_b32_e64 v37, v36, v37, s[6:7]
	v_fma_f32 v36, -v38, v36, v35
	v_cmp_lt_f32_e64 s[6:7], 0, v36
	v_cndmask_b32_e64 v36, v37, v38, s[6:7]
	v_mul_f32_e32 v37, 0x37800000, v36
	v_cndmask_b32_e32 v36, v36, v37, vcc
	v_cmp_class_f32_e32 vcc, v35, v30
	v_cndmask_b32_e32 v37, v36, v35, vcc
	v_div_scale_f32 v36, s[6:7], v24, v24, v37
	v_div_scale_f32 v38, vcc, v37, v24, v37
	v_cndmask_b32_e64 v39, v19, -v19, s[18:19]
	v_mul_f32_e32 v40, v39, v39
	v_fma_mix_f32 v35, v21, v16, v34 op_sel_hi:[0,1,0]
	v_fma_f32 v34, -v22, v40, v40
	v_fma_mix_f32 v34, v22, v17, v34 op_sel:[0,1,0] op_sel_hi:[0,1,0]
	v_mul_f32_e32 v40, 0x4f800000, v34
	v_cmp_gt_f32_e64 s[6:7], s41, v34
	v_cndmask_b32_e64 v40, v34, v40, s[6:7]
	v_sqrt_f32_e32 v42, v40
	v_fma_f32 v45, -v21, v39, v39
	v_rcp_f32_e32 v41, v36
	v_fma_f32 v43, -v36, v41, 1.0
	v_fmac_f32_e32 v41, v43, v41
	v_mul_f32_e32 v43, v38, v41
	v_fma_f32 v44, -v36, v43, v38
	v_fmac_f32_e32 v43, v44, v41
	v_fma_f32 v36, -v36, v43, v38
	v_div_fmas_f32 v38, v36, v41, v43
	v_add_u32_e32 v36, -1, v42
	v_add_u32_e32 v41, 1, v42
	v_fma_f32 v43, -v36, v42, v40
	v_fma_f32 v44, -v41, v42, v40
	v_cmp_ge_f32_e32 vcc, 0, v43
	v_cndmask_b32_e32 v36, v42, v36, vcc
	v_cmp_lt_f32_e32 vcc, 0, v44
	v_cndmask_b32_e32 v36, v36, v41, vcc
	v_mul_f32_e32 v41, 0x37800000, v36
	v_cndmask_b32_e64 v36, v36, v41, s[6:7]
	v_cmp_class_f32_e32 vcc, v40, v30
	v_cndmask_b32_e32 v40, v36, v40, vcc
	v_div_scale_f32 v41, s[6:7], v24, v24, v40
	v_mul_f32_e32 v36, v31, v35
	v_div_fixup_f32 v37, v38, v24, v37
	v_add_f32_e32 v37, v37, v23
	v_div_scale_f32 v42, s[8:9], v37, v37, v36
	v_div_scale_f32 v38, s[6:7], v40, v24, v40
	v_div_scale_f32 v44, vcc, v36, v37, v36
	v_cndmask_b32_e64 v43, v1, -v1, s[18:19]
	v_mul_f32_e32 v39, v43, v43
	v_fma_f32 v39, -v22, v39, v39
	v_fma_mix_f32 v17, v22, v17, v39 op_sel_hi:[0,1,0]
	v_mul_f32_e32 v47, 0x4f800000, v17
	v_rcp_f32_e32 v46, v41
	v_cmp_gt_f32_e64 s[8:9], s41, v17
	v_fma_f32 v43, -v21, v43, v43
	v_fma_f32 v39, -v41, v46, 1.0
	v_fmac_f32_e32 v46, v39, v46
	v_rcp_f32_e32 v39, v42
	v_mul_f32_e32 v48, v38, v46
	v_fma_f32 v49, -v41, v48, v38
	v_fmac_f32_e32 v48, v49, v46
	v_fma_f32 v38, -v41, v48, v38
	v_fma_f32 v41, -v42, v39, 1.0
	v_fmac_f32_e32 v39, v41, v39
	v_mul_f32_e32 v41, v44, v39
	v_fma_f32 v49, -v42, v41, v44
	v_fmac_f32_e32 v41, v49, v39
	v_fma_f32 v42, -v42, v41, v44
	v_div_fmas_f32 v39, v42, v39, v41
	v_cndmask_b32_e64 v41, v17, v47, s[8:9]
	s_mov_b64 vcc, s[6:7]
	v_sqrt_f32_e32 v42, v41
	v_div_fmas_f32 v44, v38, v46, v48
	v_fma_mix_f32 v38, v21, v15, v45 op_sel:[0,1,0] op_sel_hi:[0,1,0]
	v_fma_mix_f32 v15, v21, v15, v43 op_sel_hi:[0,1,0]
	v_add_u32_e32 v45, -1, v42
	v_fma_f32 v46, -v45, v42, v41
	v_cmp_ge_f32_e32 vcc, 0, v46
	v_add_u32_e32 v46, 1, v42
	v_cndmask_b32_e32 v45, v42, v45, vcc
	v_fma_f32 v42, -v46, v42, v41
	v_cmp_lt_f32_e32 vcc, 0, v42
	v_cndmask_b32_e32 v42, v45, v46, vcc
	v_mul_f32_e32 v45, 0x37800000, v42
	v_cndmask_b32_e64 v42, v42, v45, s[8:9]
	v_cmp_class_f32_e32 vcc, v41, v30
	v_cndmask_b32_e32 v41, v42, v41, vcc
	v_div_scale_f32 v42, s[6:7], v24, v24, v41
	v_div_fixup_f32 v40, v44, v24, v40
	v_add_f32_e32 v40, v40, v23
	v_mul_f32_e32 v44, v31, v38
	v_div_scale_f32 v46, s[8:9], v40, v40, v44
	v_div_scale_f32 v45, s[6:7], v41, v24, v41
	v_div_scale_f32 v47, vcc, v44, v40, v44
	v_mul_f32_e32 v43, v31, v15
	v_div_fixup_f32 v36, v39, v37, v36
	v_rcp_f32_e32 v48, v42
	v_fma_f32 v49, -v42, v48, 1.0
	v_fmac_f32_e32 v48, v49, v48
	v_rcp_f32_e32 v50, v46
	v_mul_f32_e32 v49, v45, v48
	v_fma_f32 v51, -v42, v49, v45
	v_fmac_f32_e32 v49, v51, v48
	v_fma_f32 v42, -v42, v49, v45
	v_fma_f32 v45, -v46, v50, 1.0
	v_fmac_f32_e32 v50, v45, v50
	v_mul_f32_e32 v45, v47, v50
	v_fma_f32 v51, -v46, v45, v47
	v_fmac_f32_e32 v45, v51, v50
	v_fma_f32 v46, -v46, v45, v47
	v_div_fmas_f32 v45, v46, v50, v45
	s_mov_b64 vcc, s[6:7]
	v_div_fmas_f32 v42, v42, v48, v49
	v_cndmask_b32_e64 v46, v20, -v20, s[18:19]
	v_mul_f32_e32 v47, v46, v46
	v_fma_f32 v47, -v22, v47, v47
	v_fma_mix_f32 v18, v22, v18, v47 op_sel:[0,1,0] op_sel_hi:[0,1,0]
	v_mul_f32_e32 v47, 0x4f800000, v18
	v_cmp_gt_f32_e32 vcc, s41, v18
	v_cndmask_b32_e32 v47, v18, v47, vcc
	v_sqrt_f32_e32 v48, v47
	v_fma_f32 v46, -v21, v46, v46
	v_fma_mix_f32 v16, v21, v16, v46 op_sel:[0,1,0] op_sel_hi:[0,1,0]
	v_mul_f32_e32 v46, v31, v16
	v_add_u32_e32 v49, -1, v48
	v_fma_f32 v50, -v49, v48, v47
	v_div_fixup_f32 v37, v45, v40, v44
	v_div_fixup_f32 v41, v42, v24, v41
	v_add_f32_e32 v41, v41, v23
	v_div_scale_f32 v42, s[6:7], v41, v41, v43
	v_cmp_ge_f32_e64 s[6:7], 0, v50
	v_add_u32_e32 v50, 1, v48
	v_cndmask_b32_e64 v49, v48, v49, s[6:7]
	v_fma_f32 v48, -v50, v48, v47
	v_cmp_lt_f32_e64 s[6:7], 0, v48
	v_cndmask_b32_e64 v48, v49, v50, s[6:7]
	v_mul_f32_e32 v49, 0x37800000, v48
	v_cndmask_b32_e32 v48, v48, v49, vcc
	v_cmp_class_f32_e32 vcc, v47, v30
	v_cndmask_b32_e32 v47, v48, v47, vcc
	v_div_scale_f32 v48, s[6:7], v24, v24, v47
	v_div_scale_f32 v49, vcc, v43, v41, v43
	v_div_scale_f32 v50, s[6:7], v47, v24, v47
	v_rcp_f32_e32 v51, v42
	v_fma_f32 v53, -v42, v51, 1.0
	v_fmac_f32_e32 v51, v53, v51
	v_rcp_f32_e32 v52, v48
	v_mul_f32_e32 v53, v49, v51
	v_fma_f32 v54, -v42, v53, v49
	v_fmac_f32_e32 v53, v54, v51
	v_fma_f32 v42, -v42, v53, v49
	v_fma_f32 v49, -v48, v52, 1.0
	v_fmac_f32_e32 v52, v49, v52
	v_mul_f32_e32 v49, v50, v52
	v_div_fmas_f32 v42, v42, v51, v53
	v_fma_f32 v51, -v48, v49, v50
	v_fmac_f32_e32 v49, v51, v52
	v_fma_f32 v48, -v48, v49, v50
	s_mov_b64 vcc, s[6:7]
	v_div_fmas_f32 v48, v48, v52, v49
	v_cvt_f32_f16_e32 v50, v14
	v_cvt_f32_f16_sdwa v52, v14 dst_sel:DWORD dst_unused:UNUSED_PAD src0_sel:WORD_1
	v_cvt_f32_f16_sdwa v54, v13 dst_sel:DWORD dst_unused:UNUSED_PAD src0_sel:WORD_1
	v_fma_mix_f32 v13, -v28, v13, v13 op_sel_hi:[0,1,1]
	v_fma_mix_f32 v51, -v28, v14, v14 op_sel_hi:[0,1,1]
	v_fma_mix_f32 v14, -v28, v14, v14 op_sel:[0,1,1] op_sel_hi:[0,1,1]
	v_cndmask_b32_e64 v13, v56, v13, s[0:1]
	v_cndmask_b32_e64 v14, v52, v14, s[0:1]
	v_div_fixup_f32 v39, v42, v41, v43
	v_sub_f32_e32 v13, v13, v39
	v_cvt_f16_f32_e32 v13, v13
	v_div_fixup_f32 v47, v48, v24, v47
	v_add_f32_e32 v47, v47, v23
	v_div_scale_f32 v48, s[6:7], v47, v47, v46
	v_div_scale_f32 v49, vcc, v46, v47, v46
	v_rcp_f32_e32 v53, v48
	v_fma_f32 v57, -v48, v53, 1.0
	v_fmac_f32_e32 v53, v57, v53
	v_mul_f32_e32 v57, v49, v53
	v_fma_f32 v58, -v48, v57, v49
	v_fmac_f32_e32 v57, v58, v53
	v_fma_f32 v48, -v48, v57, v49
	v_div_fmas_f32 v48, v48, v53, v57
	v_cndmask_b32_e64 v49, v50, v51, s[0:1]
	v_cndmask_b32_e64 v50, v54, v55, s[0:1]
	v_sub_f32_e32 v36, v49, v36
	v_sub_f32_e32 v37, v50, v37
	v_cvt_f16_f32_e32 v36, v36
	v_cvt_f16_f32_e32 v37, v37
	s_and_b64 vcc, exec, s[2:3]
	v_pack_b32_f16 v13, v13, v37
	v_div_fixup_f32 v39, v48, v47, v46
	v_sub_f32_e32 v14, v14, v39
	v_cvt_f16_f32_e32 v14, v14
	v_pack_b32_f16 v14, v36, v14
	global_store_dwordx2 v[11:12], v[13:14], off
	s_cbranch_vccnz .LBB3_9
; %bb.19:                               ;   in Loop: Header=BB3_10 Depth=1
	v_cvt_f16_f32_e32 v11, v32
	v_cvt_f16_f32_e32 v13, v19
	v_cvt_f16_f32_e32 v12, v20
	v_cvt_f16_f32_e32 v1, v1
	v_pack_b32_f16 v12, v11, v12
	v_pack_b32_f16 v11, v1, v13
	global_store_dwordx2 v[9:10], v[11:12], off
	s_branch .LBB3_9
.LBB3_20:
                                        ; implicit-def: $sgpr7
	v_mov_b32_e32 v25, s7
	s_branch .LBB3_2
.LBB3_21:
	s_or_b64 exec, exec, s[24:25]
	s_mov_b64 s[0:1], 0
.LBB3_22:
	s_andn2_b64 vcc, exec, s[0:1]
	s_cbranch_vccnz .LBB3_84
; %bb.23:
	v_cmp_lt_i64_e64 s[0:1], s[22:23], 1
	s_and_b64 vcc, exec, s[0:1]
	s_cbranch_vccnz .LBB3_84
; %bb.24:
	v_div_scale_f32 v6, s[0:1], v27, v27, v25
	v_div_scale_f32 v7, vcc, v25, v27, v25
	v_mov_b32_e32 v4, 0x10000
	s_load_dword s6, s[4:5], 0xd64
	v_mov_b32_e32 v5, 0
	v_cmp_lt_i64_e64 s[2:3], s[22:23], v[4:5]
	v_cmp_lt_u64_e64 s[4:5], s[22:23], v[4:5]
	s_and_b64 s[2:3], s[2:3], exec
	v_mov_b32_e32 v2, 0
	v_lshlrev_b32_e32 v1, 1, v0
	s_cselect_b32 s21, s23, 0
	s_cselect_b32 s20, s22, 0x10000
	s_waitcnt lgkmcnt(0)
	s_and_b32 s6, s6, 0xffff
	v_mad_u64_u32 v[11:12], s[2:3], s6, 6, v[1:2]
	v_rcp_f32_e32 v10, v6
	v_mov_b32_e32 v8, s11
	v_mov_b32_e32 v9, s13
	s_and_b64 s[2:3], s[4:5], exec
	v_fma_f32 v4, -v6, v10, 1.0
	v_fmac_f32_e32 v10, v4, v10
	v_mul_f32_e32 v4, v7, v10
	v_fma_f32 v5, -v6, v4, v7
	v_fmac_f32_e32 v4, v5, v10
	v_fma_f32 v5, -v6, v4, v7
	v_div_fmas_f32 v6, v5, v10, v4
	v_add_co_u32_e32 v4, vcc, s10, v11
	v_addc_co_u32_e32 v5, vcc, v8, v12, vcc
	v_add_co_u32_e32 v7, vcc, s12, v11
	v_addc_co_u32_e32 v8, vcc, v9, v12, vcc
	v_mov_b32_e32 v10, s31
	v_add_co_u32_e32 v9, vcc, s30, v11
	s_cselect_b32 s23, s23, 0
	s_cselect_b32 s22, s22, 0x10000
	s_lshl_b32 s4, s6, 1
	v_addc_co_u32_e32 v10, vcc, v10, v12, vcc
	s_cmp_lg_u64 s[16:17], 0
	v_mov_b32_e32 v13, s29
	v_add_co_u32_e32 v11, vcc, s28, v11
	s_cselect_b64 s[24:25], -1, 0
	s_lshl_b32 s33, s6, 2
	v_addc_co_u32_e32 v12, vcc, v13, v12, vcc
	v_add_co_u32_e32 v19, vcc, s33, v1
	v_addc_co_u32_e64 v20, s[2:3], 0, 0, vcc
	v_mov_b32_e32 v14, s11
	v_add_co_u32_e32 v13, vcc, s10, v19
	v_addc_co_u32_e32 v14, vcc, v14, v20, vcc
	v_mov_b32_e32 v16, s13
	v_add_co_u32_e32 v15, vcc, s12, v19
	v_addc_co_u32_e32 v16, vcc, v16, v20, vcc
	;; [unrolled: 3-line block ×3, first 2 shown]
	v_mul_f32_e32 v3, v25, v26
	v_div_fixup_f32 v6, v6, v27, v25
	v_mov_b32_e32 v25, s29
	v_add_co_u32_e32 v19, vcc, s28, v19
	v_addc_co_u32_e32 v20, vcc, v25, v20, vcc
	v_cmp_neq_f32_e64 s[0:1], 0, v26
	v_mov_b32_e32 v26, s11
	v_add_co_u32_e32 v25, vcc, s10, v1
	v_addc_co_u32_e32 v26, vcc, 0, v26, vcc
	v_mov_b32_e32 v28, s13
	v_add_co_u32_e32 v27, vcc, s12, v1
	v_addc_co_u32_e32 v28, vcc, 0, v28, vcc
	;; [unrolled: 3-line block ×4, first 2 shown]
	v_add_co_u32_e32 v32, vcc, s6, v0
	v_lshlrev_b32_e32 v40, 1, v32
	v_addc_co_u32_e64 v33, s[2:3], 0, 0, vcc
	v_mov_b32_e32 v35, s11
	v_add_co_u32_e32 v34, vcc, s10, v40
	v_addc_co_u32_e32 v35, vcc, 0, v35, vcc
	v_mov_b32_e32 v37, s13
	v_add_co_u32_e32 v36, vcc, s12, v40
	v_addc_co_u32_e32 v37, vcc, 0, v37, vcc
	;; [unrolled: 3-line block ×3, first 2 shown]
	v_mov_b32_e32 v41, s29
	v_add_co_u32_e32 v40, vcc, s28, v40
	s_mul_i32 s5, s6, 3
	v_addc_co_u32_e32 v41, vcc, 0, v41, vcc
	v_add_co_u32_e32 v42, vcc, s5, v0
	v_addc_co_u32_e64 v43, s[2:3], 0, 0, vcc
	v_add_co_u32_e32 v44, vcc, s4, v0
	s_mov_b64 s[26:27], 0
	s_lshl_b32 s34, s6, 3
	s_mov_b32 s30, 0xf800000
	v_addc_co_u32_e64 v45, s[2:3], 0, 0, vcc
	v_mov_b32_e32 v46, 0x260
	s_branch .LBB3_26
.LBB3_25:                               ;   in Loop: Header=BB3_26 Depth=1
	s_or_b64 exec, exec, s[2:3]
	v_add_co_u32_e32 v25, vcc, s34, v25
	v_addc_co_u32_e32 v26, vcc, 0, v26, vcc
	v_add_co_u32_e32 v27, vcc, s34, v27
	v_addc_co_u32_e32 v28, vcc, 0, v28, vcc
	;; [unrolled: 2-line block ×14, first 2 shown]
	s_add_u32 s26, s26, s33
	v_add_co_u32_e32 v38, vcc, s34, v38
	v_mov_b32_e32 v48, s21
	s_addc_u32 s27, s27, 0
	v_addc_co_u32_e32 v39, vcc, 0, v39, vcc
	v_mov_b32_e32 v47, s20
	v_cmp_ge_i64_e32 vcc, s[26:27], v[47:48]
	v_add_co_u32_e64 v40, s[2:3], s34, v40
	v_addc_co_u32_e64 v41, s[2:3], 0, v41, s[2:3]
	s_cbranch_vccnz .LBB3_84
.LBB3_26:                               ; =>This Inner Loop Header: Depth=1
	v_mov_b32_e32 v48, s27
	v_add_co_u32_e32 v47, vcc, s26, v0
	v_addc_co_u32_e32 v48, vcc, 0, v48, vcc
	v_cmp_gt_u64_e64 s[2:3], s[22:23], v[47:48]
	v_mov_b32_e32 v47, 0
	v_mov_b32_e32 v56, 0
	s_and_saveexec_b64 s[4:5], s[2:3]
	s_cbranch_execz .LBB3_28
; %bb.27:                               ;   in Loop: Header=BB3_26 Depth=1
	v_mov_b32_e32 v50, s15
	v_add_co_u32_e32 v47, vcc, s14, v27
	v_addc_co_u32_e32 v48, vcc, v28, v50, vcc
	v_add_co_u32_e32 v49, vcc, s14, v25
	v_addc_co_u32_e32 v50, vcc, v26, v50, vcc
	global_load_ushort v51, v[49:50], off
	global_load_ushort v52, v[47:48], off
	s_waitcnt vmcnt(1)
	v_cvt_f32_f16_e32 v56, v51
	s_waitcnt vmcnt(0)
	v_cvt_f32_f16_e32 v47, v52
.LBB3_28:                               ;   in Loop: Header=BB3_26 Depth=1
	s_or_b64 exec, exec, s[4:5]
	v_mov_b32_e32 v48, 0
	v_mov_b32_e32 v61, 0
	v_mov_b32_e32 v52, 0
	s_and_saveexec_b64 s[4:5], s[2:3]
	s_cbranch_execz .LBB3_30
; %bb.29:                               ;   in Loop: Header=BB3_26 Depth=1
	v_mov_b32_e32 v52, s15
	v_add_co_u32_e32 v49, vcc, s14, v1
	v_addc_co_u32_e32 v50, vcc, v31, v52, vcc
	v_add_co_u32_e32 v51, vcc, s14, v29
	v_addc_co_u32_e32 v52, vcc, v30, v52, vcc
	global_load_ushort v53, v[51:52], off
	global_load_ushort v54, v[49:50], off
	s_waitcnt vmcnt(1)
	v_cvt_f32_f16_e32 v52, v53
	s_waitcnt vmcnt(0)
	v_cvt_f32_f16_e32 v61, v54
.LBB3_30:                               ;   in Loop: Header=BB3_26 Depth=1
	s_or_b64 exec, exec, s[4:5]
	v_mov_b32_e32 v50, s27
	v_add_co_u32_e32 v49, vcc, s26, v32
	v_addc_co_u32_e32 v50, vcc, v33, v50, vcc
	v_cmp_gt_u64_e64 s[4:5], s[22:23], v[49:50]
	v_mov_b32_e32 v54, 0
	s_and_saveexec_b64 s[6:7], s[4:5]
	s_cbranch_execz .LBB3_32
; %bb.31:                               ;   in Loop: Header=BB3_26 Depth=1
	v_mov_b32_e32 v51, s15
	v_add_co_u32_e32 v48, vcc, s14, v36
	v_addc_co_u32_e32 v49, vcc, v37, v51, vcc
	v_add_co_u32_e32 v50, vcc, s14, v34
	v_addc_co_u32_e32 v51, vcc, v35, v51, vcc
	global_load_ushort v53, v[50:51], off
	global_load_ushort v55, v[48:49], off
	s_waitcnt vmcnt(1)
	v_cvt_f32_f16_e32 v54, v53
	s_waitcnt vmcnt(0)
	v_cvt_f32_f16_e32 v48, v55
.LBB3_32:                               ;   in Loop: Header=BB3_26 Depth=1
	s_or_b64 exec, exec, s[6:7]
	v_mov_b32_e32 v49, 0
	v_mov_b32_e32 v62, 0
	v_mov_b32_e32 v63, 0
	s_and_saveexec_b64 s[6:7], s[4:5]
	s_cbranch_execz .LBB3_34
; %bb.33:                               ;   in Loop: Header=BB3_26 Depth=1
	v_mov_b32_e32 v53, s15
	v_add_co_u32_e32 v50, vcc, s14, v40
	v_addc_co_u32_e32 v51, vcc, v41, v53, vcc
	v_add_co_u32_e32 v57, vcc, s14, v38
	v_addc_co_u32_e32 v58, vcc, v39, v53, vcc
	global_load_ushort v53, v[57:58], off
	global_load_ushort v55, v[50:51], off
	s_waitcnt vmcnt(1)
	v_cvt_f32_f16_e32 v63, v53
	s_waitcnt vmcnt(0)
	v_cvt_f32_f16_e32 v62, v55
.LBB3_34:                               ;   in Loop: Header=BB3_26 Depth=1
	s_or_b64 exec, exec, s[6:7]
	v_mov_b32_e32 v51, s27
	v_add_co_u32_e32 v50, vcc, s26, v44
	v_addc_co_u32_e32 v51, vcc, v45, v51, vcc
	v_cmp_gt_u64_e64 s[6:7], s[22:23], v[50:51]
	;; [unrolled: 40-line block ×3, first 2 shown]
	v_mov_b32_e32 v51, 0
	s_and_saveexec_b64 s[10:11], s[8:9]
	s_cbranch_execz .LBB3_40
; %bb.39:                               ;   in Loop: Header=BB3_26 Depth=1
	v_mov_b32_e32 v55, s15
	v_add_co_u32_e32 v50, vcc, s14, v7
	v_addc_co_u32_e32 v51, vcc, v8, v55, vcc
	v_add_co_u32_e32 v57, vcc, s14, v4
	v_addc_co_u32_e32 v58, vcc, v5, v55, vcc
	global_load_ushort v55, v[57:58], off
	s_nop 0
	global_load_ushort v50, v[50:51], off
	s_waitcnt vmcnt(1)
	v_cvt_f32_f16_e32 v51, v55
	s_waitcnt vmcnt(0)
	v_cvt_f32_f16_e32 v50, v50
.LBB3_40:                               ;   in Loop: Header=BB3_26 Depth=1
	s_or_b64 exec, exec, s[10:11]
	v_mov_b32_e32 v57, 0
	v_mov_b32_e32 v58, 0
	s_and_saveexec_b64 s[10:11], s[8:9]
	s_cbranch_execz .LBB3_42
; %bb.41:                               ;   in Loop: Header=BB3_26 Depth=1
	v_mov_b32_e32 v55, s15
	v_add_co_u32_e32 v57, vcc, s14, v11
	v_addc_co_u32_e32 v58, vcc, v12, v55, vcc
	v_add_co_u32_e32 v64, vcc, s14, v9
	v_addc_co_u32_e32 v65, vcc, v10, v55, vcc
	global_load_ushort v55, v[64:65], off
	s_nop 0
	global_load_ushort v57, v[57:58], off
	s_waitcnt vmcnt(1)
	v_cvt_f32_f16_e32 v58, v55
	s_waitcnt vmcnt(0)
	v_cvt_f32_f16_e32 v57, v57
.LBB3_42:                               ;   in Loop: Header=BB3_26 Depth=1
	s_or_b64 exec, exec, s[10:11]
	v_cndmask_b32_e64 v55, 0, 1, s[24:25]
	v_cmp_ne_u32_e64 s[10:11], 1, v55
	s_andn2_b64 vcc, exec, s[24:25]
	s_cbranch_vccnz .LBB3_44
; %bb.43:                               ;   in Loop: Header=BB3_26 Depth=1
	global_load_dword v55, v2, s[16:17]
	s_waitcnt vmcnt(0)
	v_div_scale_f32 v64, s[12:13], v55, v55, v47
	v_div_scale_f32 v65, vcc, v47, v55, v47
	v_rcp_f32_e32 v66, v64
	v_fma_f32 v67, -v64, v66, 1.0
	v_fmac_f32_e32 v66, v67, v66
	v_mul_f32_e32 v67, v65, v66
	v_fma_f32 v68, -v64, v67, v65
	v_fmac_f32_e32 v67, v68, v66
	v_fma_f32 v64, -v64, v67, v65
	v_div_fmas_f32 v64, v64, v66, v67
	v_div_fixup_f32 v47, v64, v55, v47
.LBB3_44:                               ;   in Loop: Header=BB3_26 Depth=1
	s_and_b64 vcc, exec, s[10:11]
	s_cbranch_vccnz .LBB3_46
; %bb.45:                               ;   in Loop: Header=BB3_26 Depth=1
	global_load_dword v55, v2, s[16:17]
	s_waitcnt vmcnt(0)
	v_div_scale_f32 v64, s[12:13], v55, v55, v48
	v_div_scale_f32 v65, vcc, v48, v55, v48
	v_rcp_f32_e32 v66, v64
	v_fma_f32 v67, -v64, v66, 1.0
	v_fmac_f32_e32 v66, v67, v66
	v_mul_f32_e32 v67, v65, v66
	v_fma_f32 v68, -v64, v67, v65
	v_fmac_f32_e32 v67, v68, v66
	v_fma_f32 v64, -v64, v67, v65
	v_div_fmas_f32 v64, v64, v66, v67
	v_div_fixup_f32 v48, v64, v55, v48
.LBB3_46:                               ;   in Loop: Header=BB3_26 Depth=1
	s_and_b64 vcc, exec, s[10:11]
	;; [unrolled: 17-line block ×3, first 2 shown]
	s_cbranch_vccnz .LBB3_50
; %bb.49:                               ;   in Loop: Header=BB3_26 Depth=1
	global_load_dword v55, v2, s[16:17]
	s_waitcnt vmcnt(0)
	v_div_scale_f32 v64, s[12:13], v55, v55, v50
	v_div_scale_f32 v65, vcc, v50, v55, v50
	v_rcp_f32_e32 v66, v64
	v_fma_f32 v67, -v64, v66, 1.0
	v_fmac_f32_e32 v66, v67, v66
	v_mul_f32_e32 v67, v65, v66
	v_fma_f32 v68, -v64, v67, v65
	v_fmac_f32_e32 v67, v68, v66
	v_fma_f32 v64, -v64, v67, v65
	v_div_fmas_f32 v64, v64, v66, v67
	v_div_fixup_f32 v50, v64, v55, v50
.LBB3_50:                               ;   in Loop: Header=BB3_26 Depth=1
	v_cndmask_b32_e64 v64, v47, -v47, s[18:19]
	v_fma_f32 v55, -v21, v64, v64
	v_fmac_f32_e32 v55, v21, v52
	v_mul_f32_e32 v52, v64, v64
	v_fma_f32 v52, -v22, v52, v52
	v_fmac_f32_e32 v52, v22, v61
	s_and_saveexec_b64 s[28:29], s[2:3]
	s_cbranch_execz .LBB3_52
; %bb.51:                               ;   in Loop: Header=BB3_26 Depth=1
	v_mul_f32_e32 v61, 0x4f800000, v52
	v_cmp_gt_f32_e32 vcc, s30, v52
	v_cndmask_b32_e32 v61, v52, v61, vcc
	v_sqrt_f32_e32 v64, v61
	v_add_u32_e32 v65, -1, v64
	v_fma_f32 v67, -v65, v64, v61
	v_add_u32_e32 v66, 1, v64
	v_cmp_ge_f32_e64 s[12:13], 0, v67
	v_cndmask_b32_e64 v65, v64, v65, s[12:13]
	v_fma_f32 v64, -v66, v64, v61
	v_cmp_lt_f32_e64 s[12:13], 0, v64
	v_cndmask_b32_e64 v64, v65, v66, s[12:13]
	v_mul_f32_e32 v65, 0x37800000, v64
	v_cndmask_b32_e32 v64, v64, v65, vcc
	v_cmp_class_f32_e32 vcc, v61, v46
	v_cndmask_b32_e32 v61, v64, v61, vcc
	v_div_scale_f32 v64, s[12:13], v24, v24, v61
	v_div_scale_f32 v65, vcc, v61, v24, v61
	v_rcp_f32_e32 v66, v64
	v_fma_f32 v67, -v64, v66, 1.0
	v_fmac_f32_e32 v66, v67, v66
	v_mul_f32_e32 v67, v65, v66
	v_fma_f32 v68, -v64, v67, v65
	v_fmac_f32_e32 v67, v68, v66
	v_fma_f32 v64, -v64, v67, v65
	v_div_fmas_f32 v64, v64, v66, v67
	v_mul_f32_e32 v65, v6, v55
	v_div_fixup_f32 v61, v64, v24, v61
	v_add_f32_e32 v61, v61, v23
	v_div_scale_f32 v64, s[12:13], v61, v61, v65
	v_div_scale_f32 v66, vcc, v65, v61, v65
	v_rcp_f32_e32 v67, v64
	v_fma_f32 v68, -v64, v67, 1.0
	v_fmac_f32_e32 v67, v68, v67
	v_mul_f32_e32 v68, v66, v67
	v_fma_f32 v69, -v64, v68, v66
	v_fmac_f32_e32 v68, v69, v67
	v_fma_f32 v64, -v64, v68, v66
	v_div_fmas_f32 v64, v64, v67, v68
	v_fma_f32 v66, -v3, v56, v56
	v_cndmask_b32_e64 v56, v56, v66, s[0:1]
	v_mov_b32_e32 v67, s15
	v_div_fixup_f32 v61, v64, v61, v65
	v_sub_f32_e32 v56, v56, v61
	v_cvt_f16_f32_e32 v56, v56
	v_add_co_u32_e32 v64, vcc, s14, v25
	v_addc_co_u32_e32 v65, vcc, v26, v67, vcc
	global_store_short v[64:65], v56, off
.LBB3_52:                               ;   in Loop: Header=BB3_26 Depth=1
	s_or_b64 exec, exec, s[28:29]
	v_cndmask_b32_e64 v56, v48, -v48, s[18:19]
	v_fma_f32 v61, -v21, v56, v56
	v_mul_f32_e32 v56, v56, v56
	v_fma_f32 v56, -v22, v56, v56
	v_fmac_f32_e32 v61, v21, v63
	v_fmac_f32_e32 v56, v22, v62
	s_and_saveexec_b64 s[28:29], s[4:5]
	s_cbranch_execz .LBB3_54
; %bb.53:                               ;   in Loop: Header=BB3_26 Depth=1
	v_mul_f32_e32 v62, 0x4f800000, v56
	v_cmp_gt_f32_e32 vcc, s30, v56
	v_cndmask_b32_e32 v62, v56, v62, vcc
	v_sqrt_f32_e32 v63, v62
	v_add_u32_e32 v64, -1, v63
	v_fma_f32 v66, -v64, v63, v62
	v_add_u32_e32 v65, 1, v63
	v_cmp_ge_f32_e64 s[12:13], 0, v66
	v_cndmask_b32_e64 v64, v63, v64, s[12:13]
	v_fma_f32 v63, -v65, v63, v62
	v_cmp_lt_f32_e64 s[12:13], 0, v63
	v_cndmask_b32_e64 v63, v64, v65, s[12:13]
	v_mul_f32_e32 v64, 0x37800000, v63
	v_cndmask_b32_e32 v63, v63, v64, vcc
	v_cmp_class_f32_e32 vcc, v62, v46
	v_cndmask_b32_e32 v62, v63, v62, vcc
	v_div_scale_f32 v63, s[12:13], v24, v24, v62
	v_div_scale_f32 v64, vcc, v62, v24, v62
	v_rcp_f32_e32 v65, v63
	v_fma_f32 v66, -v63, v65, 1.0
	v_fmac_f32_e32 v65, v66, v65
	v_mul_f32_e32 v66, v64, v65
	v_fma_f32 v67, -v63, v66, v64
	v_fmac_f32_e32 v66, v67, v65
	v_fma_f32 v63, -v63, v66, v64
	v_div_fmas_f32 v63, v63, v65, v66
	v_mul_f32_e32 v64, v6, v61
	v_div_fixup_f32 v62, v63, v24, v62
	v_add_f32_e32 v62, v62, v23
	v_div_scale_f32 v63, s[12:13], v62, v62, v64
	v_div_scale_f32 v65, vcc, v64, v62, v64
	v_rcp_f32_e32 v66, v63
	v_fma_f32 v67, -v63, v66, 1.0
	v_fmac_f32_e32 v66, v67, v66
	v_mul_f32_e32 v67, v65, v66
	v_fma_f32 v68, -v63, v67, v65
	v_fmac_f32_e32 v67, v68, v66
	v_fma_f32 v63, -v63, v67, v65
	v_div_fmas_f32 v63, v63, v66, v67
	v_fma_f32 v65, -v3, v54, v54
	v_cndmask_b32_e64 v54, v54, v65, s[0:1]
	v_mov_b32_e32 v66, s15
	v_div_fixup_f32 v62, v63, v62, v64
	v_sub_f32_e32 v54, v54, v62
	v_cvt_f16_f32_e32 v54, v54
	v_add_co_u32_e32 v62, vcc, s14, v34
	v_addc_co_u32_e32 v63, vcc, v35, v66, vcc
	global_store_short v[62:63], v54, off
.LBB3_54:                               ;   in Loop: Header=BB3_26 Depth=1
	s_or_b64 exec, exec, s[28:29]
	v_cndmask_b32_e64 v54, v49, -v49, s[18:19]
	v_fma_f32 v62, -v21, v54, v54
	v_mul_f32_e32 v54, v54, v54
	v_fma_f32 v54, -v22, v54, v54
	v_fmac_f32_e32 v62, v21, v60
	;; [unrolled: 59-line block ×3, first 2 shown]
	v_fmac_f32_e32 v53, v22, v57
	s_and_saveexec_b64 s[28:29], s[8:9]
	s_cbranch_execz .LBB3_58
; %bb.57:                               ;   in Loop: Header=BB3_26 Depth=1
	v_mul_f32_e32 v57, 0x4f800000, v53
	v_cmp_gt_f32_e32 vcc, s30, v53
	v_cndmask_b32_e32 v57, v53, v57, vcc
	v_sqrt_f32_e32 v58, v57
	v_add_u32_e32 v60, -1, v58
	v_fma_f32 v64, -v60, v58, v57
	v_add_u32_e32 v63, 1, v58
	v_cmp_ge_f32_e64 s[12:13], 0, v64
	v_cndmask_b32_e64 v60, v58, v60, s[12:13]
	v_fma_f32 v58, -v63, v58, v57
	v_cmp_lt_f32_e64 s[12:13], 0, v58
	v_cndmask_b32_e64 v58, v60, v63, s[12:13]
	v_mul_f32_e32 v60, 0x37800000, v58
	v_cndmask_b32_e32 v58, v58, v60, vcc
	v_cmp_class_f32_e32 vcc, v57, v46
	v_cndmask_b32_e32 v57, v58, v57, vcc
	v_div_scale_f32 v58, s[12:13], v24, v24, v57
	v_div_scale_f32 v60, vcc, v57, v24, v57
	v_rcp_f32_e32 v63, v58
	v_fma_f32 v64, -v58, v63, 1.0
	v_fmac_f32_e32 v63, v64, v63
	v_mul_f32_e32 v64, v60, v63
	v_fma_f32 v65, -v58, v64, v60
	v_fmac_f32_e32 v64, v65, v63
	v_fma_f32 v58, -v58, v64, v60
	v_div_fmas_f32 v58, v58, v63, v64
	v_mul_f32_e32 v60, v6, v59
	v_div_fixup_f32 v57, v58, v24, v57
	v_add_f32_e32 v57, v57, v23
	v_div_scale_f32 v58, s[12:13], v57, v57, v60
	v_div_scale_f32 v63, vcc, v60, v57, v60
	v_rcp_f32_e32 v64, v58
	v_fma_f32 v65, -v58, v64, 1.0
	v_fmac_f32_e32 v64, v65, v64
	v_mul_f32_e32 v65, v63, v64
	v_fma_f32 v66, -v58, v65, v63
	v_fmac_f32_e32 v65, v66, v64
	v_fma_f32 v58, -v58, v65, v63
	v_div_fmas_f32 v58, v58, v64, v65
	v_fma_f32 v63, -v3, v51, v51
	v_cndmask_b32_e64 v51, v51, v63, s[0:1]
	v_mov_b32_e32 v64, s15
	v_div_fixup_f32 v57, v58, v57, v60
	v_sub_f32_e32 v51, v51, v57
	v_cvt_f16_f32_e32 v51, v51
	v_add_co_u32_e32 v57, vcc, s14, v4
	v_addc_co_u32_e32 v58, vcc, v5, v64, vcc
	global_store_short v[57:58], v51, off
.LBB3_58:                               ;   in Loop: Header=BB3_26 Depth=1
	s_or_b64 exec, exec, s[28:29]
	s_and_b64 vcc, exec, s[10:11]
	s_cbranch_vccnz .LBB3_65
; %bb.59:                               ;   in Loop: Header=BB3_26 Depth=1
	s_and_saveexec_b64 s[10:11], s[2:3]
	s_cbranch_execnz .LBB3_81
; %bb.60:                               ;   in Loop: Header=BB3_26 Depth=1
	s_or_b64 exec, exec, s[10:11]
	s_and_saveexec_b64 s[10:11], s[4:5]
	s_cbranch_execnz .LBB3_82
.LBB3_61:                               ;   in Loop: Header=BB3_26 Depth=1
	s_or_b64 exec, exec, s[10:11]
	s_and_saveexec_b64 s[10:11], s[6:7]
	s_cbranch_execnz .LBB3_83
.LBB3_62:                               ;   in Loop: Header=BB3_26 Depth=1
	s_or_b64 exec, exec, s[10:11]
	s_and_saveexec_b64 s[10:11], s[8:9]
	s_cbranch_execz .LBB3_64
.LBB3_63:                               ;   in Loop: Header=BB3_26 Depth=1
	v_cvt_f16_f32_e32 v49, v50
	v_mov_b32_e32 v48, s15
	v_add_co_u32_e32 v47, vcc, s14, v7
	v_addc_co_u32_e32 v48, vcc, v8, v48, vcc
	global_store_short v[47:48], v49, off
.LBB3_64:                               ;   in Loop: Header=BB3_26 Depth=1
	s_or_b64 exec, exec, s[10:11]
.LBB3_65:                               ;   in Loop: Header=BB3_26 Depth=1
	s_and_saveexec_b64 s[10:11], s[2:3]
	s_cbranch_execnz .LBB3_73
; %bb.66:                               ;   in Loop: Header=BB3_26 Depth=1
	s_or_b64 exec, exec, s[10:11]
	s_and_saveexec_b64 s[10:11], s[4:5]
	s_cbranch_execnz .LBB3_74
.LBB3_67:                               ;   in Loop: Header=BB3_26 Depth=1
	s_or_b64 exec, exec, s[10:11]
	s_and_saveexec_b64 s[10:11], s[6:7]
	s_cbranch_execnz .LBB3_75
.LBB3_68:                               ;   in Loop: Header=BB3_26 Depth=1
	s_or_b64 exec, exec, s[10:11]
	s_and_saveexec_b64 s[10:11], s[8:9]
	s_cbranch_execnz .LBB3_76
.LBB3_69:                               ;   in Loop: Header=BB3_26 Depth=1
	s_or_b64 exec, exec, s[10:11]
	s_and_saveexec_b64 s[10:11], s[2:3]
	s_cbranch_execnz .LBB3_77
.LBB3_70:                               ;   in Loop: Header=BB3_26 Depth=1
	s_or_b64 exec, exec, s[10:11]
	s_and_saveexec_b64 s[2:3], s[4:5]
	s_cbranch_execnz .LBB3_78
.LBB3_71:                               ;   in Loop: Header=BB3_26 Depth=1
	s_or_b64 exec, exec, s[2:3]
	s_and_saveexec_b64 s[2:3], s[6:7]
	s_cbranch_execnz .LBB3_79
.LBB3_72:                               ;   in Loop: Header=BB3_26 Depth=1
	s_or_b64 exec, exec, s[2:3]
	s_and_saveexec_b64 s[2:3], s[8:9]
	s_cbranch_execz .LBB3_25
	s_branch .LBB3_80
.LBB3_73:                               ;   in Loop: Header=BB3_26 Depth=1
	v_cvt_f16_f32_e32 v49, v55
	v_mov_b32_e32 v48, s15
	v_add_co_u32_e32 v47, vcc, s14, v29
	v_addc_co_u32_e32 v48, vcc, v30, v48, vcc
	global_store_short v[47:48], v49, off
	s_or_b64 exec, exec, s[10:11]
	s_and_saveexec_b64 s[10:11], s[4:5]
	s_cbranch_execz .LBB3_67
.LBB3_74:                               ;   in Loop: Header=BB3_26 Depth=1
	v_cvt_f16_f32_e32 v49, v61
	v_mov_b32_e32 v48, s15
	v_add_co_u32_e32 v47, vcc, s14, v38
	v_addc_co_u32_e32 v48, vcc, v39, v48, vcc
	global_store_short v[47:48], v49, off
	s_or_b64 exec, exec, s[10:11]
	s_and_saveexec_b64 s[10:11], s[6:7]
	s_cbranch_execz .LBB3_68
.LBB3_75:                               ;   in Loop: Header=BB3_26 Depth=1
	v_cvt_f16_f32_e32 v49, v62
	v_mov_b32_e32 v48, s15
	v_add_co_u32_e32 v47, vcc, s14, v17
	v_addc_co_u32_e32 v48, vcc, v18, v48, vcc
	global_store_short v[47:48], v49, off
	s_or_b64 exec, exec, s[10:11]
	s_and_saveexec_b64 s[10:11], s[8:9]
	s_cbranch_execz .LBB3_69
.LBB3_76:                               ;   in Loop: Header=BB3_26 Depth=1
	v_cvt_f16_f32_e32 v49, v59
	v_mov_b32_e32 v48, s15
	v_add_co_u32_e32 v47, vcc, s14, v9
	v_addc_co_u32_e32 v48, vcc, v10, v48, vcc
	global_store_short v[47:48], v49, off
	s_or_b64 exec, exec, s[10:11]
	s_and_saveexec_b64 s[10:11], s[2:3]
	s_cbranch_execz .LBB3_70
.LBB3_77:                               ;   in Loop: Header=BB3_26 Depth=1
	v_cvt_f16_f32_e32 v49, v52
	v_mov_b32_e32 v48, s15
	v_add_co_u32_e32 v47, vcc, s14, v1
	v_addc_co_u32_e32 v48, vcc, v31, v48, vcc
	global_store_short v[47:48], v49, off
	s_or_b64 exec, exec, s[10:11]
	s_and_saveexec_b64 s[2:3], s[4:5]
	s_cbranch_execz .LBB3_71
.LBB3_78:                               ;   in Loop: Header=BB3_26 Depth=1
	v_cvt_f16_f32_e32 v49, v56
	v_mov_b32_e32 v48, s15
	v_add_co_u32_e32 v47, vcc, s14, v40
	v_addc_co_u32_e32 v48, vcc, v41, v48, vcc
	global_store_short v[47:48], v49, off
	s_or_b64 exec, exec, s[2:3]
	s_and_saveexec_b64 s[2:3], s[6:7]
	s_cbranch_execz .LBB3_72
.LBB3_79:                               ;   in Loop: Header=BB3_26 Depth=1
	v_cvt_f16_f32_e32 v49, v54
	v_mov_b32_e32 v48, s15
	v_add_co_u32_e32 v47, vcc, s14, v19
	v_addc_co_u32_e32 v48, vcc, v20, v48, vcc
	global_store_short v[47:48], v49, off
	s_or_b64 exec, exec, s[2:3]
	s_and_saveexec_b64 s[2:3], s[8:9]
	s_cbranch_execz .LBB3_25
.LBB3_80:                               ;   in Loop: Header=BB3_26 Depth=1
	v_cvt_f16_f32_e32 v49, v53
	v_mov_b32_e32 v48, s15
	v_add_co_u32_e32 v47, vcc, s14, v11
	v_addc_co_u32_e32 v48, vcc, v12, v48, vcc
	global_store_short v[47:48], v49, off
	s_branch .LBB3_25
.LBB3_81:                               ;   in Loop: Header=BB3_26 Depth=1
	v_cvt_f16_f32_e32 v47, v47
	v_mov_b32_e32 v51, s15
	v_add_co_u32_e32 v57, vcc, s14, v27
	v_addc_co_u32_e32 v58, vcc, v28, v51, vcc
	global_store_short v[57:58], v47, off
	s_or_b64 exec, exec, s[10:11]
	s_and_saveexec_b64 s[10:11], s[4:5]
	s_cbranch_execz .LBB3_61
.LBB3_82:                               ;   in Loop: Header=BB3_26 Depth=1
	v_cvt_f16_f32_e32 v51, v48
	v_mov_b32_e32 v48, s15
	v_add_co_u32_e32 v47, vcc, s14, v36
	v_addc_co_u32_e32 v48, vcc, v37, v48, vcc
	global_store_short v[47:48], v51, off
	s_or_b64 exec, exec, s[10:11]
	s_and_saveexec_b64 s[10:11], s[6:7]
	s_cbranch_execz .LBB3_62
.LBB3_83:                               ;   in Loop: Header=BB3_26 Depth=1
	v_cvt_f16_f32_e32 v49, v49
	v_mov_b32_e32 v48, s15
	v_add_co_u32_e32 v47, vcc, s14, v15
	v_addc_co_u32_e32 v48, vcc, v16, v48, vcc
	global_store_short v[47:48], v49, off
	s_or_b64 exec, exec, s[10:11]
	s_and_saveexec_b64 s[10:11], s[8:9]
	s_cbranch_execnz .LBB3_63
	s_branch .LBB3_64
.LBB3_84:
	s_endpgm
	.section	.rodata,"a",@progbits
	.p2align	6, 0x0
	.amdhsa_kernel _ZN2at6native12_GLOBAL__N_125multi_tensor_apply_kernelINS1_32FusedOptimizerTensorListMetadataILi4EEENS1_20FusedAdamMathFunctorIN3c104HalfELi4ELNS0_9ADAM_MODEE1ELb0EEEJPKfdddddbSB_SB_EEEvT_T0_DpT1_
		.amdhsa_group_segment_fixed_size 0
		.amdhsa_private_segment_fixed_size 0
		.amdhsa_kernarg_size 3672
		.amdhsa_user_sgpr_count 6
		.amdhsa_user_sgpr_private_segment_buffer 1
		.amdhsa_user_sgpr_dispatch_ptr 0
		.amdhsa_user_sgpr_queue_ptr 0
		.amdhsa_user_sgpr_kernarg_segment_ptr 1
		.amdhsa_user_sgpr_dispatch_id 0
		.amdhsa_user_sgpr_flat_scratch_init 0
		.amdhsa_user_sgpr_private_segment_size 0
		.amdhsa_uses_dynamic_stack 0
		.amdhsa_system_sgpr_private_segment_wavefront_offset 0
		.amdhsa_system_sgpr_workgroup_id_x 1
		.amdhsa_system_sgpr_workgroup_id_y 0
		.amdhsa_system_sgpr_workgroup_id_z 0
		.amdhsa_system_sgpr_workgroup_info 0
		.amdhsa_system_vgpr_workitem_id 0
		.amdhsa_next_free_vgpr 70
		.amdhsa_next_free_sgpr 44
		.amdhsa_reserve_vcc 1
		.amdhsa_reserve_flat_scratch 0
		.amdhsa_float_round_mode_32 0
		.amdhsa_float_round_mode_16_64 0
		.amdhsa_float_denorm_mode_32 3
		.amdhsa_float_denorm_mode_16_64 3
		.amdhsa_dx10_clamp 1
		.amdhsa_ieee_mode 1
		.amdhsa_fp16_overflow 0
		.amdhsa_exception_fp_ieee_invalid_op 0
		.amdhsa_exception_fp_denorm_src 0
		.amdhsa_exception_fp_ieee_div_zero 0
		.amdhsa_exception_fp_ieee_overflow 0
		.amdhsa_exception_fp_ieee_underflow 0
		.amdhsa_exception_fp_ieee_inexact 0
		.amdhsa_exception_int_div_zero 0
	.end_amdhsa_kernel
	.section	.text._ZN2at6native12_GLOBAL__N_125multi_tensor_apply_kernelINS1_32FusedOptimizerTensorListMetadataILi4EEENS1_20FusedAdamMathFunctorIN3c104HalfELi4ELNS0_9ADAM_MODEE1ELb0EEEJPKfdddddbSB_SB_EEEvT_T0_DpT1_,"axG",@progbits,_ZN2at6native12_GLOBAL__N_125multi_tensor_apply_kernelINS1_32FusedOptimizerTensorListMetadataILi4EEENS1_20FusedAdamMathFunctorIN3c104HalfELi4ELNS0_9ADAM_MODEE1ELb0EEEJPKfdddddbSB_SB_EEEvT_T0_DpT1_,comdat
.Lfunc_end3:
	.size	_ZN2at6native12_GLOBAL__N_125multi_tensor_apply_kernelINS1_32FusedOptimizerTensorListMetadataILi4EEENS1_20FusedAdamMathFunctorIN3c104HalfELi4ELNS0_9ADAM_MODEE1ELb0EEEJPKfdddddbSB_SB_EEEvT_T0_DpT1_, .Lfunc_end3-_ZN2at6native12_GLOBAL__N_125multi_tensor_apply_kernelINS1_32FusedOptimizerTensorListMetadataILi4EEENS1_20FusedAdamMathFunctorIN3c104HalfELi4ELNS0_9ADAM_MODEE1ELb0EEEJPKfdddddbSB_SB_EEEvT_T0_DpT1_
                                        ; -- End function
	.set _ZN2at6native12_GLOBAL__N_125multi_tensor_apply_kernelINS1_32FusedOptimizerTensorListMetadataILi4EEENS1_20FusedAdamMathFunctorIN3c104HalfELi4ELNS0_9ADAM_MODEE1ELb0EEEJPKfdddddbSB_SB_EEEvT_T0_DpT1_.num_vgpr, 70
	.set _ZN2at6native12_GLOBAL__N_125multi_tensor_apply_kernelINS1_32FusedOptimizerTensorListMetadataILi4EEENS1_20FusedAdamMathFunctorIN3c104HalfELi4ELNS0_9ADAM_MODEE1ELb0EEEJPKfdddddbSB_SB_EEEvT_T0_DpT1_.num_agpr, 0
	.set _ZN2at6native12_GLOBAL__N_125multi_tensor_apply_kernelINS1_32FusedOptimizerTensorListMetadataILi4EEENS1_20FusedAdamMathFunctorIN3c104HalfELi4ELNS0_9ADAM_MODEE1ELb0EEEJPKfdddddbSB_SB_EEEvT_T0_DpT1_.numbered_sgpr, 44
	.set _ZN2at6native12_GLOBAL__N_125multi_tensor_apply_kernelINS1_32FusedOptimizerTensorListMetadataILi4EEENS1_20FusedAdamMathFunctorIN3c104HalfELi4ELNS0_9ADAM_MODEE1ELb0EEEJPKfdddddbSB_SB_EEEvT_T0_DpT1_.num_named_barrier, 0
	.set _ZN2at6native12_GLOBAL__N_125multi_tensor_apply_kernelINS1_32FusedOptimizerTensorListMetadataILi4EEENS1_20FusedAdamMathFunctorIN3c104HalfELi4ELNS0_9ADAM_MODEE1ELb0EEEJPKfdddddbSB_SB_EEEvT_T0_DpT1_.private_seg_size, 0
	.set _ZN2at6native12_GLOBAL__N_125multi_tensor_apply_kernelINS1_32FusedOptimizerTensorListMetadataILi4EEENS1_20FusedAdamMathFunctorIN3c104HalfELi4ELNS0_9ADAM_MODEE1ELb0EEEJPKfdddddbSB_SB_EEEvT_T0_DpT1_.uses_vcc, 1
	.set _ZN2at6native12_GLOBAL__N_125multi_tensor_apply_kernelINS1_32FusedOptimizerTensorListMetadataILi4EEENS1_20FusedAdamMathFunctorIN3c104HalfELi4ELNS0_9ADAM_MODEE1ELb0EEEJPKfdddddbSB_SB_EEEvT_T0_DpT1_.uses_flat_scratch, 0
	.set _ZN2at6native12_GLOBAL__N_125multi_tensor_apply_kernelINS1_32FusedOptimizerTensorListMetadataILi4EEENS1_20FusedAdamMathFunctorIN3c104HalfELi4ELNS0_9ADAM_MODEE1ELb0EEEJPKfdddddbSB_SB_EEEvT_T0_DpT1_.has_dyn_sized_stack, 0
	.set _ZN2at6native12_GLOBAL__N_125multi_tensor_apply_kernelINS1_32FusedOptimizerTensorListMetadataILi4EEENS1_20FusedAdamMathFunctorIN3c104HalfELi4ELNS0_9ADAM_MODEE1ELb0EEEJPKfdddddbSB_SB_EEEvT_T0_DpT1_.has_recursion, 0
	.set _ZN2at6native12_GLOBAL__N_125multi_tensor_apply_kernelINS1_32FusedOptimizerTensorListMetadataILi4EEENS1_20FusedAdamMathFunctorIN3c104HalfELi4ELNS0_9ADAM_MODEE1ELb0EEEJPKfdddddbSB_SB_EEEvT_T0_DpT1_.has_indirect_call, 0
	.section	.AMDGPU.csdata,"",@progbits
; Kernel info:
; codeLenInByte = 8168
; TotalNumSgprs: 48
; NumVgprs: 70
; ScratchSize: 0
; MemoryBound: 0
; FloatMode: 240
; IeeeMode: 1
; LDSByteSize: 0 bytes/workgroup (compile time only)
; SGPRBlocks: 5
; VGPRBlocks: 17
; NumSGPRsForWavesPerEU: 48
; NumVGPRsForWavesPerEU: 70
; Occupancy: 3
; WaveLimiterHint : 0
; COMPUTE_PGM_RSRC2:SCRATCH_EN: 0
; COMPUTE_PGM_RSRC2:USER_SGPR: 6
; COMPUTE_PGM_RSRC2:TRAP_HANDLER: 0
; COMPUTE_PGM_RSRC2:TGID_X_EN: 1
; COMPUTE_PGM_RSRC2:TGID_Y_EN: 0
; COMPUTE_PGM_RSRC2:TGID_Z_EN: 0
; COMPUTE_PGM_RSRC2:TIDIG_COMP_CNT: 0
	.section	.text._ZN2at6native12_GLOBAL__N_125multi_tensor_apply_kernelINS1_32FusedOptimizerTensorListMetadataILi4EEENS1_20FusedAdamMathFunctorIN3c108BFloat16ELi4ELNS0_9ADAM_MODEE1ELb0EEEJPKfdddddbSB_SB_EEEvT_T0_DpT1_,"axG",@progbits,_ZN2at6native12_GLOBAL__N_125multi_tensor_apply_kernelINS1_32FusedOptimizerTensorListMetadataILi4EEENS1_20FusedAdamMathFunctorIN3c108BFloat16ELi4ELNS0_9ADAM_MODEE1ELb0EEEJPKfdddddbSB_SB_EEEvT_T0_DpT1_,comdat
	.globl	_ZN2at6native12_GLOBAL__N_125multi_tensor_apply_kernelINS1_32FusedOptimizerTensorListMetadataILi4EEENS1_20FusedAdamMathFunctorIN3c108BFloat16ELi4ELNS0_9ADAM_MODEE1ELb0EEEJPKfdddddbSB_SB_EEEvT_T0_DpT1_ ; -- Begin function _ZN2at6native12_GLOBAL__N_125multi_tensor_apply_kernelINS1_32FusedOptimizerTensorListMetadataILi4EEENS1_20FusedAdamMathFunctorIN3c108BFloat16ELi4ELNS0_9ADAM_MODEE1ELb0EEEJPKfdddddbSB_SB_EEEvT_T0_DpT1_
	.p2align	8
	.type	_ZN2at6native12_GLOBAL__N_125multi_tensor_apply_kernelINS1_32FusedOptimizerTensorListMetadataILi4EEENS1_20FusedAdamMathFunctorIN3c108BFloat16ELi4ELNS0_9ADAM_MODEE1ELb0EEEJPKfdddddbSB_SB_EEEvT_T0_DpT1_,@function
_ZN2at6native12_GLOBAL__N_125multi_tensor_apply_kernelINS1_32FusedOptimizerTensorListMetadataILi4EEENS1_20FusedAdamMathFunctorIN3c108BFloat16ELi4ELNS0_9ADAM_MODEE1ELb0EEEJPKfdddddbSB_SB_EEEvT_T0_DpT1_: ; @_ZN2at6native12_GLOBAL__N_125multi_tensor_apply_kernelINS1_32FusedOptimizerTensorListMetadataILi4EEENS1_20FusedAdamMathFunctorIN3c108BFloat16ELi4ELNS0_9ADAM_MODEE1ELb0EEEJPKfdddddbSB_SB_EEEvT_T0_DpT1_
; %bb.0:
	v_mov_b32_e32 v1, s6
	global_load_ubyte v1, v1, s[4:5] offset:1728
	s_load_dwordx4 s[20:23], s[4:5], 0xd30
	s_load_dwordx8 s[8:15], s[4:5], 0xd10
	s_add_u32 s0, s4, s6
	s_mul_hi_u32 s1, s6, 3
	s_mul_i32 s6, s6, 3
	s_addc_u32 s2, s5, 0
	s_add_u32 s0, s0, s6
	s_addc_u32 s1, s2, s1
	s_waitcnt lgkmcnt(0)
	s_cmp_eq_u64 s[8:9], 0
	s_mov_b64 s[2:3], 0
	s_waitcnt vmcnt(0)
	v_readfirstlane_b32 s6, v1
	s_cbranch_scc1 .LBB4_28
; %bb.1:
	s_load_dword s7, s[8:9], 0x0
	s_andn2_b64 vcc, exec, s[2:3]
	s_waitcnt lgkmcnt(0)
	v_mov_b32_e32 v25, s7
	s_cbranch_vccnz .LBB4_3
.LBB4_2:
	v_cvt_f32_f64_e32 v25, s[10:11]
.LBB4_3:
	s_load_dwordx4 s[16:19], s[4:5], 0xd48
	s_waitcnt lgkmcnt(0)
	s_cmp_eq_u64 s[18:19], 0
	s_cselect_b64 s[2:3], -1, 0
	s_and_b64 vcc, exec, s[2:3]
	s_cbranch_vccnz .LBB4_5
; %bb.4:
	s_load_dword s2, s[18:19], 0x0
	s_waitcnt lgkmcnt(0)
	v_cmp_neq_f32_e64 s[2:3], s2, 1.0
.LBB4_5:
	s_andn2_b64 vcc, exec, s[2:3]
	s_cbranch_vccnz .LBB4_100
; %bb.6:
	s_load_dword s2, s[4:5], 0xd40
	v_cvt_f32_f64_e32 v21, s[12:13]
	s_mov_b32 s11, 0x3f2aaaab
	v_mov_b32_e32 v11, 0x3ecccdef
	v_cvt_f32_f64_e32 v22, s[14:15]
	s_waitcnt lgkmcnt(0)
	s_bitcmp1_b32 s2, 0
	s_cselect_b64 s[18:19], -1, 0
	s_and_b32 s2, s6, 0xff
	s_lshl_b32 s24, s2, 3
	s_load_dwordx2 s[2:3], s[4:5], s24 offset:0x5a0
	s_load_dword s8, s[0:1], 0x800
	s_load_dwordx2 s[6:7], s[4:5], s24 offset:0x480
	v_cmp_neq_f32_e32 vcc, 1.0, v21
	s_mov_b32 s14, 0x3f317218
	s_waitcnt lgkmcnt(0)
	s_load_dword s0, s[2:3], 0x0
	s_movk_i32 s9, 0x204
	s_mov_b32 s10, 0x42b17218
	s_mov_b32 s25, 0x3fb8aa3b
	;; [unrolled: 1-line block ×3, first 2 shown]
	s_waitcnt lgkmcnt(0)
	v_mov_b32_e32 v5, s0
	v_cndmask_b32_e32 v1, 1.0, v5, vcc
	v_cmp_neq_f32_e32 vcc, 0, v1
	v_cndmask_b32_e32 v2, 1.0, v21, vcc
	v_frexp_mant_f32_e64 v3, |v2|
	v_cmp_gt_f32_e32 vcc, s11, v3
	v_cndmask_b32_e64 v4, 1.0, 2.0, vcc
	v_mul_f32_e32 v3, v3, v4
	v_add_f32_e32 v4, 1.0, v3
	v_rcp_f32_e32 v6, v4
	v_add_f32_e32 v7, -1.0, v3
	v_add_f32_e32 v8, -1.0, v4
	v_sub_f32_e32 v3, v3, v8
	v_mul_f32_e32 v8, v7, v6
	v_mul_f32_e32 v9, v4, v8
	v_fma_f32 v4, v8, v4, -v9
	v_fmac_f32_e32 v4, v8, v3
	v_add_f32_e32 v3, v9, v4
	v_sub_f32_e32 v10, v7, v3
	v_sub_f32_e32 v9, v3, v9
	;; [unrolled: 1-line block ×5, first 2 shown]
	v_add_f32_e32 v3, v4, v3
	v_add_f32_e32 v3, v10, v3
	v_mul_f32_e32 v3, v6, v3
	v_add_f32_e32 v6, v8, v3
	v_sub_f32_e32 v4, v6, v8
	v_mul_f32_e32 v7, v6, v6
	v_sub_f32_e32 v8, v3, v4
	v_fma_f32 v3, v6, v6, -v7
	v_add_f32_e32 v4, v8, v8
	v_fmac_f32_e32 v3, v6, v4
	v_add_f32_e32 v4, v7, v3
	v_sub_f32_e32 v7, v4, v7
	v_sub_f32_e32 v3, v3, v7
	v_mul_f32_e32 v7, v6, v4
	v_fma_f32 v12, v4, v6, -v7
	v_fmac_f32_e32 v12, v4, v8
	v_mov_b32_e32 v10, 0x3e91f4c4
	v_fmac_f32_e32 v12, v3, v6
	v_fmac_f32_e32 v10, 0x3e76c4e1, v4
	v_add_f32_e32 v13, v7, v12
	v_fma_f32 v10, v4, v10, v11
	v_sub_f32_e32 v7, v13, v7
	v_sub_f32_e32 v7, v12, v7
	v_mul_f32_e32 v12, v4, v10
	v_fma_f32 v4, v4, v10, -v12
	v_fmac_f32_e32 v4, v3, v10
	v_add_f32_e32 v10, v12, v4
	v_sub_f32_e32 v3, v10, v12
	v_sub_f32_e32 v12, v4, v3
	v_cvt_f64_f32_e64 v[3:4], |v2|
	v_add_f32_e32 v14, 0x3f2aaaaa, v10
	v_add_f32_e32 v15, 0xbf2aaaaa, v14
	;; [unrolled: 1-line block ×3, first 2 shown]
	v_frexp_exp_i32_f64_e32 v3, v[3:4]
	v_sub_f32_e32 v10, v10, v15
	v_add_f32_e32 v4, v12, v10
	v_add_f32_e32 v10, v14, v4
	v_sub_f32_e32 v12, v14, v10
	v_add_f32_e32 v4, v4, v12
	v_mul_f32_e32 v12, v13, v10
	v_fma_f32 v14, v13, v10, -v12
	v_subbrev_co_u32_e32 v3, vcc, 0, v3, vcc
	v_cvt_f32_i32_e32 v3, v3
	v_fmac_f32_e32 v14, v13, v4
	v_fmac_f32_e32 v14, v7, v10
	v_ldexp_f32 v6, v6, 1
	v_mul_f32_e32 v4, 0x3f317218, v3
	v_fma_f32 v7, v3, s14, -v4
	v_fmac_f32_e32 v7, 0xb102e308, v3
	v_ldexp_f32 v3, v8, 1
	v_add_f32_e32 v8, v4, v7
	v_sub_f32_e32 v4, v8, v4
	v_sub_f32_e32 v4, v7, v4
	v_add_f32_e32 v7, v12, v14
	v_sub_f32_e32 v10, v7, v12
	v_add_f32_e32 v12, v6, v7
	v_sub_f32_e32 v10, v14, v10
	v_sub_f32_e32 v6, v12, v6
	;; [unrolled: 1-line block ×3, first 2 shown]
	v_add_f32_e32 v3, v3, v10
	v_add_f32_e32 v3, v3, v6
	;; [unrolled: 1-line block ×3, first 2 shown]
	v_sub_f32_e32 v7, v6, v12
	v_sub_f32_e32 v3, v3, v7
	v_add_f32_e32 v7, v8, v6
	v_sub_f32_e32 v10, v7, v8
	v_sub_f32_e32 v12, v7, v10
	;; [unrolled: 1-line block ×4, first 2 shown]
	v_add_f32_e32 v6, v6, v8
	v_add_f32_e32 v8, v4, v3
	v_sub_f32_e32 v10, v8, v4
	v_sub_f32_e32 v12, v8, v10
	;; [unrolled: 1-line block ×4, first 2 shown]
	v_add_f32_e32 v3, v3, v4
	v_add_f32_e32 v4, v8, v6
	;; [unrolled: 1-line block ×3, first 2 shown]
	v_sub_f32_e32 v7, v6, v7
	v_sub_f32_e32 v4, v4, v7
	v_add_f32_e32 v3, v3, v4
	v_add_f32_e32 v4, v6, v3
	v_sub_f32_e32 v6, v4, v6
	v_sub_f32_e32 v3, v3, v6
	v_mul_f32_e32 v6, v1, v4
	v_fma_f32 v4, v1, v4, -v6
	v_fmac_f32_e32 v4, v1, v3
	v_add_f32_e32 v3, v6, v4
	v_cmp_class_f32_e64 vcc, v6, s9
	v_sub_f32_e32 v7, v3, v6
	v_cndmask_b32_e32 v3, v3, v6, vcc
	v_mov_b32_e32 v6, 0x37000000
	v_cmp_eq_f32_e32 vcc, s10, v3
	v_sub_f32_e32 v4, v4, v7
	v_cndmask_b32_e32 v7, 0, v6, vcc
	v_sub_f32_e32 v8, v3, v7
	v_mul_f32_e32 v10, 0x3fb8aa3b, v8
	v_fma_f32 v12, v8, s25, -v10
	v_rndne_f32_e32 v13, v10
	v_fmac_f32_e32 v12, 0x32a5705f, v8
	v_sub_f32_e32 v10, v10, v13
	v_add_f32_e32 v10, v10, v12
	v_exp_f32_e32 v10, v10
	v_cvt_i32_f32_e32 v12, v13
	v_cmp_neq_f32_e64 vcc, |v3|, s15
	s_mov_b32 s26, 0xc2ce8ed0
	v_cndmask_b32_e32 v3, 0, v4, vcc
	v_ldexp_f32 v4, v10, v12
	v_cmp_ngt_f32_e32 vcc, s26, v8
	v_add_f32_e32 v3, v7, v3
	v_cndmask_b32_e32 v4, 0, v4, vcc
	v_mov_b32_e32 v7, 0x7f800000
	v_cmp_nlt_f32_e32 vcc, s10, v8
	v_cndmask_b32_e32 v4, v7, v4, vcc
	v_fma_f32 v3, v4, v3, v4
	v_cmp_class_f32_e64 vcc, v4, s9
	v_cndmask_b32_e32 v3, v3, v4, vcc
	v_trunc_f32_e32 v4, v1
	v_cmp_eq_f32_e32 vcc, v4, v1
	v_mul_f32_e32 v4, 0.5, v1
	v_trunc_f32_e32 v10, v4
	v_cmp_neq_f32_e64 s[0:1], v10, v4
	s_and_b64 s[0:1], vcc, s[0:1]
	v_cndmask_b32_e64 v4, 1.0, v2, s[0:1]
	s_brev_b32 s27, -2
	v_mov_b32_e32 v8, 0x7fc00000
	v_bfi_b32 v3, s27, v3, v4
	v_cmp_neq_f32_e64 s[2:3], v1, |v1|
	v_cmp_lt_f32_e64 s[12:13], |v2|, 1.0
	v_cndmask_b32_e32 v4, v8, v3, vcc
	v_cmp_gt_f32_e32 vcc, 0, v2
	s_xor_b64 s[2:3], s[2:3], s[12:13]
	v_cndmask_b32_e32 v3, v3, v4, vcc
	v_cndmask_b32_e64 v4, v7, 0, s[2:3]
	v_cmp_neq_f32_e64 vcc, |v2|, 1.0
	v_cndmask_b32_e32 v4, 1.0, v4, vcc
	v_cmp_class_f32_e64 vcc, v1, s9
	v_cndmask_b32_e32 v3, v3, v4, vcc
	v_cmp_eq_f32_e32 vcc, 0, v2
	v_cmp_gt_f32_e64 s[2:3], 0, v1
	s_xor_b64 s[2:3], s[2:3], vcc
	v_cmp_class_f32_e64 s[12:13], v2, s9
	v_cndmask_b32_e64 v4, v7, 0, s[2:3]
	v_cndmask_b32_e64 v10, 0, v2, s[0:1]
	v_bfi_b32 v4, s27, v4, v10
	s_or_b64 vcc, vcc, s[12:13]
	v_cndmask_b32_e32 v10, v3, v4, vcc
	v_cmp_neq_f32_e32 vcc, 1.0, v22
	v_cndmask_b32_e32 v5, 1.0, v5, vcc
	v_cmp_neq_f32_e32 vcc, 0, v5
	v_cndmask_b32_e32 v12, 1.0, v22, vcc
	v_frexp_mant_f32_e64 v3, |v12|
	v_cmp_gt_f32_e32 vcc, s11, v3
	v_cndmask_b32_e64 v4, 1.0, 2.0, vcc
	v_mul_f32_e32 v3, v3, v4
	v_add_f32_e32 v4, 1.0, v3
	v_rcp_f32_e32 v13, v4
	v_add_f32_e32 v14, -1.0, v3
	v_add_f32_e32 v15, -1.0, v4
	v_sub_f32_e32 v3, v3, v15
	v_mul_f32_e32 v15, v14, v13
	v_mul_f32_e32 v16, v4, v15
	v_fma_f32 v4, v15, v4, -v16
	v_fmac_f32_e32 v4, v15, v3
	v_add_f32_e32 v3, v16, v4
	v_sub_f32_e32 v17, v14, v3
	v_sub_f32_e32 v16, v3, v16
	;; [unrolled: 1-line block ×5, first 2 shown]
	v_add_f32_e32 v3, v4, v3
	v_add_f32_e32 v3, v17, v3
	v_mul_f32_e32 v3, v13, v3
	v_add_f32_e32 v13, v15, v3
	v_sub_f32_e32 v4, v13, v15
	v_sub_f32_e32 v14, v3, v4
	v_mul_f32_e32 v3, v13, v13
	v_fma_f32 v4, v13, v13, -v3
	v_add_f32_e32 v15, v14, v14
	v_fmac_f32_e32 v4, v13, v15
	v_mov_b32_e32 v9, 0x3e91f4c4
	v_add_f32_e32 v15, v3, v4
	v_fmac_f32_e32 v9, 0x3e76c4e1, v15
	v_fmac_f32_e32 v11, v15, v9
	v_sub_f32_e32 v3, v15, v3
	v_mul_f32_e32 v9, v13, v15
	v_sub_f32_e32 v3, v4, v3
	v_fma_f32 v16, v15, v13, -v9
	v_mul_f32_e32 v4, v15, v11
	v_fmac_f32_e32 v16, v15, v14
	v_fma_f32 v15, v15, v11, -v4
	v_fmac_f32_e32 v15, v3, v11
	v_fmac_f32_e32 v16, v3, v13
	v_add_f32_e32 v3, v4, v15
	v_add_f32_e32 v11, 0x3f2aaaaa, v3
	v_sub_f32_e32 v4, v3, v4
	v_sub_f32_e32 v4, v15, v4
	v_add_f32_e32 v15, 0xbf2aaaaa, v11
	v_add_f32_e32 v4, 0x31739010, v4
	v_sub_f32_e32 v3, v3, v15
	v_add_f32_e32 v15, v4, v3
	v_cvt_f64_f32_e64 v[3:4], |v12|
	v_add_f32_e32 v17, v9, v16
	v_add_f32_e32 v18, v11, v15
	v_sub_f32_e32 v11, v11, v18
	v_frexp_exp_i32_f64_e32 v3, v[3:4]
	v_mul_f32_e32 v4, v17, v18
	v_add_f32_e32 v11, v15, v11
	v_fma_f32 v15, v17, v18, -v4
	v_sub_f32_e32 v9, v17, v9
	v_fmac_f32_e32 v15, v17, v11
	v_sub_f32_e32 v9, v16, v9
	v_fmac_f32_e32 v15, v9, v18
	v_subbrev_co_u32_e32 v3, vcc, 0, v3, vcc
	v_cvt_f32_i32_e32 v3, v3
	v_ldexp_f32 v13, v13, 1
	v_cmp_neq_f32_e64 s[2:3], v5, |v5|
	s_load_dwordx2 s[28:29], s[4:5], s24 offset:0x0
	s_load_dwordx2 s[12:13], s[4:5], s24 offset:0x120
	v_mul_f32_e32 v9, 0x3f317218, v3
	v_fma_f32 v11, v3, s14, -v9
	v_fmac_f32_e32 v11, 0xb102e308, v3
	v_ldexp_f32 v3, v14, 1
	v_add_f32_e32 v14, v9, v11
	v_sub_f32_e32 v9, v14, v9
	v_sub_f32_e32 v9, v11, v9
	v_add_f32_e32 v11, v4, v15
	v_sub_f32_e32 v4, v11, v4
	v_sub_f32_e32 v4, v15, v4
	v_add_f32_e32 v15, v13, v11
	v_sub_f32_e32 v13, v15, v13
	v_sub_f32_e32 v11, v11, v13
	v_add_f32_e32 v3, v3, v4
	v_add_f32_e32 v3, v3, v11
	;; [unrolled: 1-line block ×3, first 2 shown]
	v_sub_f32_e32 v11, v4, v15
	v_sub_f32_e32 v3, v3, v11
	v_add_f32_e32 v11, v14, v4
	v_sub_f32_e32 v13, v11, v14
	v_sub_f32_e32 v15, v11, v13
	;; [unrolled: 1-line block ×4, first 2 shown]
	v_add_f32_e32 v13, v9, v3
	v_add_f32_e32 v4, v4, v14
	v_sub_f32_e32 v14, v13, v9
	v_sub_f32_e32 v15, v13, v14
	;; [unrolled: 1-line block ×4, first 2 shown]
	v_add_f32_e32 v4, v13, v4
	v_add_f32_e32 v3, v3, v9
	;; [unrolled: 1-line block ×3, first 2 shown]
	v_sub_f32_e32 v11, v9, v11
	v_sub_f32_e32 v4, v4, v11
	v_add_f32_e32 v3, v3, v4
	v_add_f32_e32 v4, v9, v3
	v_sub_f32_e32 v9, v4, v9
	v_sub_f32_e32 v3, v3, v9
	v_mul_f32_e32 v9, v5, v4
	v_fma_f32 v4, v5, v4, -v9
	v_fmac_f32_e32 v4, v5, v3
	v_add_f32_e32 v3, v9, v4
	v_cmp_class_f32_e64 vcc, v9, s9
	v_sub_f32_e32 v11, v3, v9
	v_cndmask_b32_e32 v3, v3, v9, vcc
	v_cmp_eq_f32_e32 vcc, s10, v3
	v_cndmask_b32_e32 v6, 0, v6, vcc
	v_sub_f32_e32 v9, v3, v6
	v_sub_f32_e32 v4, v4, v11
	v_mul_f32_e32 v11, 0x3fb8aa3b, v9
	v_fma_f32 v13, v9, s25, -v11
	v_rndne_f32_e32 v14, v11
	v_fmac_f32_e32 v13, 0x32a5705f, v9
	v_sub_f32_e32 v11, v11, v14
	v_add_f32_e32 v11, v11, v13
	v_exp_f32_e32 v11, v11
	v_cvt_i32_f32_e32 v13, v14
	v_cmp_neq_f32_e64 vcc, |v3|, s15
	v_cndmask_b32_e32 v3, 0, v4, vcc
	v_cmp_ngt_f32_e32 vcc, s26, v9
	v_ldexp_f32 v4, v11, v13
	v_cndmask_b32_e32 v4, 0, v4, vcc
	v_cmp_nlt_f32_e32 vcc, s10, v9
	v_add_f32_e32 v3, v6, v3
	v_cndmask_b32_e32 v4, v7, v4, vcc
	v_fma_f32 v3, v4, v3, v4
	v_cmp_class_f32_e64 vcc, v4, s9
	v_cndmask_b32_e32 v3, v3, v4, vcc
	v_trunc_f32_e32 v4, v5
	v_cmp_eq_f32_e32 vcc, v4, v5
	v_mul_f32_e32 v4, 0.5, v5
	v_trunc_f32_e32 v6, v4
	v_cmp_neq_f32_e64 s[0:1], v6, v4
	s_and_b64 s[0:1], vcc, s[0:1]
	v_cndmask_b32_e64 v4, 1.0, v12, s[0:1]
	v_bfi_b32 v3, s27, v3, v4
	v_cmp_lt_f32_e64 s[10:11], |v12|, 1.0
	v_cndmask_b32_e32 v4, v8, v3, vcc
	v_cmp_gt_f32_e32 vcc, 0, v12
	s_xor_b64 s[2:3], s[2:3], s[10:11]
	v_cndmask_b32_e32 v3, v3, v4, vcc
	v_cndmask_b32_e64 v4, v7, 0, s[2:3]
	v_cmp_neq_f32_e64 vcc, |v12|, 1.0
	v_cndmask_b32_e32 v4, 1.0, v4, vcc
	v_cmp_class_f32_e64 vcc, v5, s9
	v_cndmask_b32_e32 v3, v3, v4, vcc
	v_cmp_eq_f32_e32 vcc, 0, v12
	v_cmp_gt_f32_e64 s[2:3], 0, v5
	s_xor_b64 s[2:3], s[2:3], vcc
	v_cmp_class_f32_e64 s[10:11], v12, s9
	v_cndmask_b32_e64 v4, v7, 0, s[2:3]
	v_cndmask_b32_e64 v6, 0, v12, s[0:1]
	v_bfi_b32 v4, s27, v4, v6
	s_or_b64 vcc, vcc, s[10:11]
	v_cndmask_b32_e32 v3, v3, v4, vcc
	v_sub_f32_e32 v3, 1.0, v3
	v_cmp_o_f32_e32 vcc, v12, v5
	v_cndmask_b32_e32 v3, v8, v3, vcc
	s_mov_b32 s0, 0xf800000
	v_mul_f32_e32 v4, 0x4f800000, v3
	v_cmp_gt_f32_e32 vcc, s0, v3
	v_cndmask_b32_e32 v3, v3, v4, vcc
	v_sqrt_f32_e32 v4, v3
	v_cmp_o_f32_e64 s[0:1], v2, v1
	v_sub_f32_e32 v5, 1.0, v10
	v_cndmask_b32_e64 v27, v8, v5, s[0:1]
	v_add_u32_e32 v1, -1, v4
	v_fma_f32 v2, -v1, v4, v3
	v_cmp_ge_f32_e64 s[0:1], 0, v2
	v_add_u32_e32 v2, 1, v4
	v_cndmask_b32_e64 v1, v4, v1, s[0:1]
	v_fma_f32 v4, -v2, v4, v3
	v_cmp_lt_f32_e64 s[0:1], 0, v4
	s_ashr_i32 s9, s8, 31
	v_cndmask_b32_e64 v1, v1, v2, s[0:1]
	s_lshl_b64 s[0:1], s[8:9], 16
	v_cvt_f32_f64_e32 v23, s[22:23]
	s_sub_u32 s22, s6, s0
	s_subb_u32 s23, s7, s1
	s_lshl_b64 s[14:15], s[8:9], 17
	s_load_dwordx2 s[30:31], s[4:5], s24 offset:0x240
	s_load_dwordx2 s[10:11], s[4:5], s24 offset:0x360
	v_cvt_f32_f64_e32 v26, s[20:21]
	s_mov_b32 s21, 0
	s_waitcnt lgkmcnt(0)
	s_add_u32 s0, s12, s14
	s_and_b32 s20, s28, 7
	s_and_b32 s0, s0, 7
	s_mov_b32 s1, s21
	s_cmp_lg_u64 s[0:1], 0
	s_cselect_b64 s[0:1], -1, 0
	s_add_u32 s2, s30, s14
	s_or_b32 s2, s10, s2
	s_and_b32 s2, s2, 7
	s_cmp_lg_u32 s2, 0
	s_cselect_b64 s[2:3], -1, 0
	s_or_b64 s[0:1], s[2:3], s[0:1]
	s_and_b32 s2, s6, 3
	s_mov_b32 s3, s21
	s_or_b64 s[2:3], s[20:21], s[2:3]
	v_mul_f32_e32 v2, 0x37800000, v1
	s_cmp_lg_u64 s[2:3], 0
	v_cndmask_b32_e32 v1, v1, v2, vcc
	v_mov_b32_e32 v2, 0x260
	s_cselect_b64 s[2:3], -1, 0
	v_cmp_class_f32_e32 vcc, v3, v2
	s_or_b64 s[0:1], s[0:1], s[2:3]
	v_cndmask_b32_e32 v24, v1, v3, vcc
	s_andn2_b64 vcc, exec, s[0:1]
	s_mov_b64 s[0:1], -1
	s_cbranch_vccz .LBB4_30
; %bb.7:
	v_mov_b32_e32 v1, 0x10000
	v_mov_b32_e32 v2, 0
	v_cmp_lt_i64_e32 vcc, s[22:23], v[1:2]
	v_mov_b32_e32 v2, 0
	s_and_b64 s[0:1], vcc, exec
	s_cselect_b32 s21, s23, 0
	s_cselect_b32 s20, s22, 0x10000
	v_lshlrev_b32_e32 v1, 2, v0
	v_cmp_gt_i64_e32 vcc, s[20:21], v[1:2]
	s_and_saveexec_b64 s[24:25], vcc
	s_cbranch_execz .LBB4_29
; %bb.8:
	v_div_scale_f32 v3, s[0:1], v27, v27, v25
	v_div_scale_f32 v4, vcc, v25, v27, v25
	s_load_dword s2, s[4:5], 0xd64
	v_mov_b32_e32 v1, v2
	s_cmp_lg_u64 s[16:17], 0
	v_lshlrev_b32_e32 v6, 3, v0
	v_mov_b32_e32 v7, s15
	s_cselect_b64 s[34:35], -1, 0
	s_waitcnt lgkmcnt(0)
	s_and_b32 s37, s2, 0xffff
	s_mov_b64 s[26:27], 0
	v_cmp_neq_f32_e64 s[0:1], 0, v26
	v_mul_f32_e32 v28, v25, v26
	v_mov_b32_e32 v29, s29
	s_movk_i32 s33, 0x7fff
	v_rcp_f32_e32 v5, v3
	s_mov_b32 s36, 0xf800000
	v_mov_b32_e32 v30, 0x260
	v_mov_b32_e32 v31, s13
	v_fma_f32 v8, -v3, v5, 1.0
	v_fmac_f32_e32 v5, v8, v5
	v_mul_f32_e32 v8, v4, v5
	v_fma_f32 v9, -v3, v8, v4
	v_fmac_f32_e32 v8, v9, v5
	v_fma_f32 v3, -v3, v8, v4
	v_div_fmas_f32 v3, v3, v5, v8
	v_add_co_u32_e32 v36, vcc, s14, v6
	v_mov_b32_e32 v32, s31
	v_mov_b32_e32 v33, s11
	;; [unrolled: 1-line block ×4, first 2 shown]
	v_addc_co_u32_e32 v37, vcc, 0, v7, vcc
	s_lshl_b32 s38, s37, 3
	v_div_fixup_f32 v38, v3, v27, v25
	v_mov_b32_e32 v4, v1
	v_mov_b32_e32 v3, v0
	s_branch .LBB4_10
.LBB4_9:                                ;   in Loop: Header=BB4_10 Depth=1
	v_bfe_u32 v9, v40, 16, 1
	v_bfe_u32 v10, v1, 16, 1
	v_add3_u32 v9, v40, v9, s33
	v_cmp_o_f32_e32 vcc, v40, v40
	v_add3_u32 v10, v1, v10, s33
	v_cndmask_b32_sdwa v9, v34, v9, vcc dst_sel:DWORD dst_unused:UNUSED_PAD src0_sel:DWORD src1_sel:WORD_1
	v_lshrrev_b32_e32 v10, 16, v10
	v_cmp_o_f32_e32 vcc, v1, v1
	v_cndmask_b32_e32 v1, v34, v10, vcc
	v_bfe_u32 v10, v42, 16, 1
	v_add3_u32 v10, v42, v10, s33
	v_and_b32_e32 v10, 0xffff0000, v10
	v_cmp_o_f32_e32 vcc, v42, v42
	v_cndmask_b32_e32 v10, v35, v10, vcc
	v_or_b32_e32 v9, v10, v9
	v_bfe_u32 v10, v39, 16, 1
	v_add3_u32 v10, v39, v10, s33
	v_and_b32_e32 v10, 0xffff0000, v10
	v_cmp_o_f32_e32 vcc, v39, v39
	v_cndmask_b32_e32 v10, v35, v10, vcc
	v_or_b32_e32 v1, v10, v1
	v_bfe_u32 v10, v20, 16, 1
	v_add3_u32 v10, v20, v10, s33
	v_bfe_u32 v11, v19, 16, 1
	v_lshrrev_b32_e32 v10, 16, v10
	v_cmp_o_f32_e32 vcc, v20, v20
	v_add3_u32 v11, v19, v11, s33
	v_bfe_u32 v12, v16, 16, 1
	v_cndmask_b32_e32 v10, v34, v10, vcc
	v_lshrrev_b32_e32 v11, 16, v11
	v_cmp_o_f32_e32 vcc, v19, v19
	v_add3_u32 v12, v16, v12, s33
	v_cndmask_b32_e32 v11, v34, v11, vcc
	v_and_b32_e32 v12, 0xffff0000, v12
	v_cmp_o_f32_e32 vcc, v16, v16
	v_cndmask_b32_e32 v12, v35, v12, vcc
	v_or3_b32 v10, 0, v10, v12
	v_bfe_u32 v12, v17, 16, 1
	v_add3_u32 v12, v17, v12, s33
	v_and_b32_e32 v12, 0xffff0000, v12
	v_cmp_o_f32_e32 vcc, v17, v17
	v_cndmask_b32_e32 v12, v35, v12, vcc
	v_add_co_u32_e32 v3, vcc, s37, v3
	v_addc_co_u32_e32 v4, vcc, 0, v4, vcc
	v_lshlrev_b64 v[13:14], 2, v[3:4]
	v_or3_b32 v9, v9, 0, 0
	v_cmp_le_i64_e32 vcc, s[20:21], v[13:14]
	v_or3_b32 v12, 0, v11, v12
	s_or_b64 s[26:27], vcc, s[26:27]
	v_add_co_u32_e32 v36, vcc, s38, v36
	v_or3_b32 v11, v1, 0, 0
	v_addc_co_u32_e32 v37, vcc, 0, v37, vcc
	global_store_dwordx2 v[7:8], v[9:10], off
	global_store_dwordx2 v[5:6], v[11:12], off
	s_andn2_b64 exec, exec, s[26:27]
	s_cbranch_execz .LBB4_29
.LBB4_10:                               ; =>This Inner Loop Header: Depth=1
	v_add_co_u32_e32 v9, vcc, s28, v36
	v_addc_co_u32_e32 v10, vcc, v29, v37, vcc
	v_add_co_u32_e32 v11, vcc, s12, v36
	v_addc_co_u32_e32 v12, vcc, v31, v37, vcc
	;; [unrolled: 2-line block ×3, first 2 shown]
	v_add_co_u32_e32 v5, vcc, s10, v36
	global_load_dwordx2 v[13:14], v[11:12], off
	v_addc_co_u32_e32 v6, vcc, v33, v37, vcc
	global_load_dwordx2 v[15:16], v[9:10], off
	global_load_dwordx2 v[17:18], v[7:8], off
	;; [unrolled: 1-line block ×3, first 2 shown]
	v_cndmask_b32_e64 v1, 0, 1, s[34:35]
	v_cmp_ne_u32_e64 s[2:3], 1, v1
	s_andn2_b64 vcc, exec, s[34:35]
	s_waitcnt vmcnt(3)
	v_lshlrev_b32_e32 v1, 16, v13
	s_cbranch_vccnz .LBB4_12
; %bb.11:                               ;   in Loop: Header=BB4_10 Depth=1
	global_load_dword v39, v2, s[16:17]
	s_waitcnt vmcnt(0)
	v_div_scale_f32 v40, s[6:7], v39, v39, v1
	v_div_scale_f32 v41, vcc, v1, v39, v1
	v_rcp_f32_e32 v42, v40
	v_fma_f32 v43, -v40, v42, 1.0
	v_fmac_f32_e32 v42, v43, v42
	v_mul_f32_e32 v43, v41, v42
	v_fma_f32 v44, -v40, v43, v41
	v_fmac_f32_e32 v43, v44, v42
	v_fma_f32 v40, -v40, v43, v41
	v_div_fmas_f32 v40, v40, v42, v43
	v_div_fixup_f32 v1, v40, v39, v1
.LBB4_12:                               ;   in Loop: Header=BB4_10 Depth=1
	s_and_b64 vcc, exec, s[2:3]
	s_cbranch_vccnz .LBB4_14
; %bb.13:                               ;   in Loop: Header=BB4_10 Depth=1
	v_bfe_u32 v39, v1, 16, 1
	v_add3_u32 v39, v1, v39, s33
	v_cmp_o_f32_e32 vcc, v1, v1
	v_cndmask_b32_sdwa v39, v34, v39, vcc dst_sel:DWORD dst_unused:UNUSED_PAD src0_sel:DWORD src1_sel:WORD_1
	v_and_b32_e32 v13, 0xffff0000, v13
	v_or_b32_e32 v13, v39, v13
.LBB4_14:                               ;   in Loop: Header=BB4_10 Depth=1
	s_and_b64 vcc, exec, s[2:3]
	v_and_b32_e32 v39, 0xffff0000, v13
	s_cbranch_vccnz .LBB4_16
; %bb.15:                               ;   in Loop: Header=BB4_10 Depth=1
	global_load_dword v40, v2, s[16:17]
	s_waitcnt vmcnt(0)
	v_div_scale_f32 v41, s[6:7], v40, v40, v39
	v_div_scale_f32 v42, vcc, v39, v40, v39
	v_rcp_f32_e32 v43, v41
	v_fma_f32 v44, -v41, v43, 1.0
	v_fmac_f32_e32 v43, v44, v43
	v_mul_f32_e32 v44, v42, v43
	v_fma_f32 v45, -v41, v44, v42
	v_fmac_f32_e32 v44, v45, v43
	v_fma_f32 v41, -v41, v44, v42
	v_div_fmas_f32 v41, v41, v43, v44
	v_div_fixup_f32 v39, v41, v40, v39
.LBB4_16:                               ;   in Loop: Header=BB4_10 Depth=1
	s_and_b64 vcc, exec, s[2:3]
	s_cbranch_vccnz .LBB4_18
; %bb.17:                               ;   in Loop: Header=BB4_10 Depth=1
	v_bfe_u32 v40, v39, 16, 1
	v_add3_u32 v40, v39, v40, s33
	v_and_b32_e32 v40, 0xffff0000, v40
	v_cmp_o_f32_e32 vcc, v39, v39
	v_cndmask_b32_e32 v40, v35, v40, vcc
	v_or_b32_sdwa v13, v40, v13 dst_sel:DWORD dst_unused:UNUSED_PAD src0_sel:DWORD src1_sel:WORD_0
.LBB4_18:                               ;   in Loop: Header=BB4_10 Depth=1
	v_alignbit_b32 v40, v14, v13, 16
	s_and_b64 vcc, exec, s[2:3]
	v_and_b32_e32 v42, 0xffff0000, v40
	s_cbranch_vccnz .LBB4_20
; %bb.19:                               ;   in Loop: Header=BB4_10 Depth=1
	global_load_dword v40, v2, s[16:17]
	s_waitcnt vmcnt(0)
	v_div_scale_f32 v41, s[6:7], v40, v40, v42
	v_div_scale_f32 v43, vcc, v42, v40, v42
	v_rcp_f32_e32 v44, v41
	v_fma_f32 v45, -v41, v44, 1.0
	v_fmac_f32_e32 v44, v45, v44
	v_mul_f32_e32 v45, v43, v44
	v_fma_f32 v46, -v41, v45, v43
	v_fmac_f32_e32 v45, v46, v44
	v_fma_f32 v41, -v41, v45, v43
	v_div_fmas_f32 v41, v41, v44, v45
	v_div_fixup_f32 v42, v41, v40, v42
.LBB4_20:                               ;   in Loop: Header=BB4_10 Depth=1
	s_and_b64 vcc, exec, s[2:3]
	s_cbranch_vccnz .LBB4_22
; %bb.21:                               ;   in Loop: Header=BB4_10 Depth=1
	v_bfe_u32 v40, v42, 16, 1
	v_add3_u32 v40, v42, v40, s33
	v_cmp_o_f32_e32 vcc, v42, v42
	v_cndmask_b32_sdwa v40, v34, v40, vcc dst_sel:DWORD dst_unused:UNUSED_PAD src0_sel:DWORD src1_sel:WORD_1
	v_and_b32_e32 v14, 0xffff0000, v14
	v_or_b32_e32 v14, v40, v14
.LBB4_22:                               ;   in Loop: Header=BB4_10 Depth=1
	s_and_b64 vcc, exec, s[2:3]
	v_and_b32_e32 v41, 0xffff0000, v14
	s_cbranch_vccnz .LBB4_24
; %bb.23:                               ;   in Loop: Header=BB4_10 Depth=1
	global_load_dword v40, v2, s[16:17]
	s_waitcnt vmcnt(0)
	v_div_scale_f32 v43, s[6:7], v40, v40, v41
	v_div_scale_f32 v44, vcc, v41, v40, v41
	v_rcp_f32_e32 v45, v43
	v_fma_f32 v46, -v43, v45, 1.0
	v_fmac_f32_e32 v45, v46, v45
	v_mul_f32_e32 v46, v44, v45
	v_fma_f32 v47, -v43, v46, v44
	v_fmac_f32_e32 v46, v47, v45
	v_fma_f32 v43, -v43, v46, v44
	v_div_fmas_f32 v43, v43, v45, v46
	v_div_fixup_f32 v41, v43, v40, v41
.LBB4_24:                               ;   in Loop: Header=BB4_10 Depth=1
	s_and_b64 vcc, exec, s[2:3]
	s_cbranch_vccnz .LBB4_26
; %bb.25:                               ;   in Loop: Header=BB4_10 Depth=1
	v_bfe_u32 v40, v41, 16, 1
	v_add3_u32 v40, v41, v40, s33
	v_and_b32_e32 v40, 0xffff0000, v40
	v_cmp_o_f32_e32 vcc, v41, v41
	v_cndmask_b32_e32 v40, v35, v40, vcc
	v_or_b32_sdwa v14, v40, v14 dst_sel:DWORD dst_unused:UNUSED_PAD src0_sel:DWORD src1_sel:WORD_0
.LBB4_26:                               ;   in Loop: Header=BB4_10 Depth=1
	v_cndmask_b32_e64 v43, v1, -v1, s[18:19]
	v_mul_f32_e32 v1, v43, v43
	s_waitcnt vmcnt(0)
	v_lshlrev_b32_e32 v40, 16, v19
	v_fma_f32 v1, -v22, v1, v1
	v_fmac_f32_e32 v1, v22, v40
	v_mul_f32_e32 v40, 0x4f800000, v1
	v_cmp_gt_f32_e32 vcc, s36, v1
	v_cndmask_b32_e32 v40, v1, v40, vcc
	v_sqrt_f32_e32 v44, v40
	v_cndmask_b32_e64 v49, v39, -v39, s[18:19]
	v_mul_f32_e32 v39, v49, v49
	v_and_b32_e32 v48, 0xffff0000, v19
	v_add_u32_e32 v45, -1, v44
	v_fma_f32 v46, -v45, v44, v40
	v_cmp_ge_f32_e64 s[6:7], 0, v46
	v_add_u32_e32 v46, 1, v44
	v_cndmask_b32_e64 v45, v44, v45, s[6:7]
	v_fma_f32 v44, -v46, v44, v40
	v_cmp_lt_f32_e64 s[6:7], 0, v44
	v_cndmask_b32_e64 v44, v45, v46, s[6:7]
	v_mul_f32_e32 v45, 0x37800000, v44
	v_cndmask_b32_e32 v44, v44, v45, vcc
	v_cmp_class_f32_e32 vcc, v40, v30
	v_cndmask_b32_e32 v44, v44, v40, vcc
	v_div_scale_f32 v45, s[6:7], v24, v24, v44
	v_div_scale_f32 v46, vcc, v44, v24, v44
	v_fma_f32 v39, -v22, v39, v39
	v_fmac_f32_e32 v39, v22, v48
	v_fma_f32 v40, -v21, v43, v43
	v_mul_f32_e32 v43, 0x4f800000, v39
	v_cmp_gt_f32_e64 s[6:7], s36, v39
	v_cndmask_b32_e64 v43, v39, v43, s[6:7]
	v_sqrt_f32_e32 v50, v43
	v_lshlrev_b32_e32 v47, 16, v17
	v_fmac_f32_e32 v40, v21, v47
	v_alignbit_b32 v19, v20, v19, 16
	v_cndmask_b32_e64 v41, v41, -v41, s[18:19]
	v_rcp_f32_e32 v48, v45
	v_fma_f32 v51, -v45, v48, 1.0
	v_fmac_f32_e32 v48, v51, v48
	v_mul_f32_e32 v51, v46, v48
	v_fma_f32 v52, -v45, v51, v46
	v_fmac_f32_e32 v51, v52, v48
	v_fma_f32 v45, -v45, v51, v46
	v_div_fmas_f32 v45, v45, v48, v51
	v_add_u32_e32 v46, -1, v50
	v_fma_f32 v47, -v46, v50, v43
	v_cmp_ge_f32_e32 vcc, 0, v47
	v_add_u32_e32 v47, 1, v50
	v_fma_f32 v48, -v47, v50, v43
	v_cndmask_b32_e32 v46, v50, v46, vcc
	v_cmp_lt_f32_e32 vcc, 0, v48
	v_cndmask_b32_e32 v46, v46, v47, vcc
	v_mul_f32_e32 v47, 0x37800000, v46
	v_cndmask_b32_e64 v46, v46, v47, s[6:7]
	v_cmp_class_f32_e32 vcc, v43, v30
	v_cndmask_b32_e32 v43, v46, v43, vcc
	v_div_scale_f32 v46, s[6:7], v24, v24, v43
	v_div_scale_f32 v47, s[6:7], v43, v24, v43
	v_div_fixup_f32 v44, v45, v24, v44
	v_add_f32_e32 v44, v44, v23
	v_mul_f32_e32 v45, v38, v40
	v_div_scale_f32 v48, s[8:9], v44, v44, v45
	v_div_scale_f32 v50, vcc, v45, v44, v45
	v_and_b32_e32 v52, 0xffff0000, v17
	v_alignbit_b32 v17, v18, v17, 16
	v_and_b32_e32 v17, 0xffff0000, v17
	v_and_b32_e32 v18, 0xffff0000, v18
	v_rcp_f32_e32 v51, v46
	v_fma_f32 v53, -v46, v51, 1.0
	v_fmac_f32_e32 v51, v53, v51
	v_mul_f32_e32 v53, v47, v51
	v_rcp_f32_e32 v54, v48
	v_fma_f32 v55, -v46, v53, v47
	v_fmac_f32_e32 v53, v55, v51
	v_fma_f32 v46, -v46, v53, v47
	v_fma_f32 v47, -v48, v54, 1.0
	v_fmac_f32_e32 v54, v47, v54
	v_mul_f32_e32 v47, v50, v54
	v_fma_f32 v55, -v48, v47, v50
	v_fmac_f32_e32 v47, v55, v54
	v_fma_f32 v48, -v48, v47, v50
	v_div_fmas_f32 v47, v48, v54, v47
	s_mov_b64 vcc, s[6:7]
	v_div_fmas_f32 v46, v46, v51, v53
	v_cndmask_b32_e64 v48, v42, -v42, s[18:19]
	v_and_b32_e32 v42, 0xffff0000, v19
	v_mul_f32_e32 v19, v48, v48
	v_fma_f32 v19, -v22, v19, v19
	v_fmac_f32_e32 v19, v22, v42
	v_mul_f32_e32 v42, 0x4f800000, v19
	v_cmp_gt_f32_e32 vcc, s36, v19
	v_cndmask_b32_e32 v50, v19, v42, vcc
	v_sqrt_f32_e32 v51, v50
	v_fma_f32 v42, -v21, v49, v49
	v_fmac_f32_e32 v42, v21, v52
	v_mul_f32_e32 v49, v38, v42
	v_add_u32_e32 v52, -1, v51
	v_fma_f32 v53, -v52, v51, v50
	v_div_fixup_f32 v44, v47, v44, v45
	v_div_fixup_f32 v43, v46, v24, v43
	v_add_f32_e32 v43, v43, v23
	v_div_scale_f32 v46, s[6:7], v43, v43, v49
	v_cmp_ge_f32_e64 s[6:7], 0, v53
	v_add_u32_e32 v53, 1, v51
	v_cndmask_b32_e64 v52, v51, v52, s[6:7]
	v_fma_f32 v51, -v53, v51, v50
	v_cmp_lt_f32_e64 s[6:7], 0, v51
	v_cndmask_b32_e64 v51, v52, v53, s[6:7]
	v_mul_f32_e32 v52, 0x37800000, v51
	v_cndmask_b32_e32 v51, v51, v52, vcc
	v_cmp_class_f32_e32 vcc, v50, v30
	v_cndmask_b32_e32 v50, v51, v50, vcc
	v_div_scale_f32 v51, s[6:7], v24, v24, v50
	v_div_scale_f32 v52, vcc, v49, v43, v49
	v_div_scale_f32 v53, s[6:7], v50, v24, v50
	v_rcp_f32_e32 v54, v46
	v_fma_f32 v56, -v46, v54, 1.0
	v_fmac_f32_e32 v54, v56, v54
	v_rcp_f32_e32 v55, v51
	v_mul_f32_e32 v56, v52, v54
	v_fma_f32 v57, -v46, v56, v52
	v_fmac_f32_e32 v56, v57, v54
	v_fma_f32 v46, -v46, v56, v52
	v_fma_f32 v52, -v51, v55, 1.0
	v_fmac_f32_e32 v55, v52, v55
	v_mul_f32_e32 v52, v53, v55
	v_div_fmas_f32 v46, v46, v54, v56
	v_fma_f32 v54, -v51, v52, v53
	v_fmac_f32_e32 v52, v54, v55
	v_fma_f32 v51, -v51, v52, v53
	s_mov_b64 vcc, s[6:7]
	v_div_fmas_f32 v51, v51, v55, v52
	v_and_b32_e32 v52, 0xffff0000, v20
	v_fma_f32 v20, -v21, v48, v48
	v_mul_f32_e32 v48, v41, v41
	v_fmac_f32_e32 v20, v21, v17
	v_mul_f32_e32 v53, v38, v20
	v_div_fixup_f32 v43, v46, v43, v49
	v_div_fixup_f32 v17, v51, v24, v50
	v_add_f32_e32 v50, v17, v23
	v_fma_f32 v17, -v22, v48, v48
	v_fmac_f32_e32 v17, v22, v52
	v_mul_f32_e32 v48, 0x4f800000, v17
	v_cmp_gt_f32_e32 vcc, s36, v17
	v_cndmask_b32_e32 v48, v17, v48, vcc
	v_sqrt_f32_e32 v51, v48
	v_div_scale_f32 v52, s[6:7], v50, v50, v53
	v_div_scale_f32 v54, s[6:7], v53, v50, v53
	v_add_u32_e32 v55, -1, v51
	v_fma_f32 v56, -v55, v51, v48
	v_cmp_ge_f32_e64 s[8:9], 0, v56
	v_add_u32_e32 v56, 1, v51
	v_cndmask_b32_e64 v55, v51, v55, s[8:9]
	v_fma_f32 v51, -v56, v51, v48
	v_cmp_lt_f32_e64 s[8:9], 0, v51
	v_cndmask_b32_e64 v51, v55, v56, s[8:9]
	v_mul_f32_e32 v55, 0x37800000, v51
	v_cndmask_b32_e32 v51, v51, v55, vcc
	v_cmp_class_f32_e32 vcc, v48, v30
	v_cndmask_b32_e32 v48, v51, v48, vcc
	v_div_scale_f32 v51, s[8:9], v24, v24, v48
	v_div_scale_f32 v55, s[8:9], v48, v24, v48
	v_rcp_f32_e32 v56, v52
	s_mov_b64 vcc, s[6:7]
	v_fma_f32 v57, -v52, v56, 1.0
	v_fmac_f32_e32 v56, v57, v56
	v_mul_f32_e32 v57, v54, v56
	v_fma_f32 v58, -v52, v57, v54
	v_fmac_f32_e32 v57, v58, v56
	v_fma_f32 v52, -v52, v57, v54
	v_div_fmas_f32 v52, v52, v56, v57
	s_mov_b64 vcc, s[8:9]
	v_rcp_f32_e32 v58, v51
	v_fma_f32 v54, -v51, v58, 1.0
	v_fmac_f32_e32 v58, v54, v58
	v_mul_f32_e32 v54, v55, v58
	v_fma_f32 v56, -v51, v54, v55
	v_fmac_f32_e32 v54, v56, v58
	v_fma_f32 v51, -v51, v54, v55
	v_div_fmas_f32 v51, v51, v58, v54
	v_and_b32_e32 v54, 0xffff0000, v16
	v_alignbit_b32 v16, v16, v15, 16
	v_and_b32_e32 v55, 0xffff0000, v16
	v_fma_f32 v16, -v21, v41, v41
	v_fmac_f32_e32 v16, v21, v18
	v_mul_f32_e32 v41, v38, v16
	v_and_b32_e32 v56, 0xffff0000, v15
	v_lshlrev_b32_e32 v15, 16, v15
	v_div_fixup_f32 v18, v51, v24, v48
	v_add_f32_e32 v18, v18, v23
	v_div_scale_f32 v48, s[6:7], v18, v18, v41
	v_div_scale_f32 v45, vcc, v41, v18, v41
	v_fma_f32 v51, -v28, v15, v15
	v_cndmask_b32_e64 v15, v15, v51, s[0:1]
	v_sub_f32_e32 v15, v15, v44
	v_bfe_u32 v44, v15, 16, 1
	v_add3_u32 v44, v15, v44, s33
	v_lshrrev_b32_e32 v44, 16, v44
	v_cmp_o_f32_e64 s[6:7], v15, v15
	v_cndmask_b32_e64 v15, v34, v44, s[6:7]
	v_fma_f32 v44, -v28, v56, v56
	v_cndmask_b32_e64 v44, v56, v44, s[0:1]
	v_sub_f32_e32 v43, v44, v43
	v_bfe_u32 v44, v43, 16, 1
	v_rcp_f32_e32 v46, v48
	v_add3_u32 v44, v43, v44, s33
	v_and_b32_e32 v44, 0xffff0000, v44
	v_fma_f32 v47, -v48, v46, 1.0
	v_fmac_f32_e32 v46, v47, v46
	v_mul_f32_e32 v47, v45, v46
	v_fma_f32 v49, -v48, v47, v45
	v_fmac_f32_e32 v47, v49, v46
	v_fma_f32 v45, -v48, v47, v45
	v_div_fmas_f32 v45, v45, v46, v47
	v_cmp_o_f32_e32 vcc, v43, v43
	v_cndmask_b32_e32 v43, v35, v44, vcc
	v_or_b32_e32 v15, v43, v15
	v_fma_f32 v43, -v28, v55, v55
	v_cndmask_b32_e64 v43, v55, v43, s[0:1]
	v_div_fixup_f32 v44, v52, v50, v53
	v_sub_f32_e32 v43, v43, v44
	v_bfe_u32 v44, v43, 16, 1
	v_add3_u32 v44, v43, v44, s33
	v_lshrrev_b32_e32 v44, 16, v44
	v_cmp_o_f32_e32 vcc, v43, v43
	v_cndmask_b32_e32 v43, v34, v44, vcc
	v_fma_f32 v44, -v28, v54, v54
	v_cndmask_b32_e64 v44, v54, v44, s[0:1]
	v_div_fixup_f32 v18, v45, v18, v41
	v_sub_f32_e32 v18, v44, v18
	v_bfe_u32 v41, v18, 16, 1
	v_add3_u32 v41, v18, v41, s33
	v_and_b32_e32 v41, 0xffff0000, v41
	v_cmp_o_f32_e32 vcc, v18, v18
	v_cndmask_b32_e32 v18, v35, v41, vcc
	v_or3_b32 v44, 0, v43, v18
	v_or3_b32 v43, v15, 0, 0
	s_and_b64 vcc, exec, s[2:3]
	global_store_dwordx2 v[9:10], v[43:44], off
	s_cbranch_vccnz .LBB4_9
; %bb.27:                               ;   in Loop: Header=BB4_10 Depth=1
	global_store_dwordx2 v[11:12], v[13:14], off
	s_branch .LBB4_9
.LBB4_28:
                                        ; implicit-def: $sgpr7
	v_mov_b32_e32 v25, s7
	s_branch .LBB4_2
.LBB4_29:
	s_or_b64 exec, exec, s[24:25]
	s_mov_b64 s[0:1], 0
.LBB4_30:
	s_andn2_b64 vcc, exec, s[0:1]
	s_cbranch_vccnz .LBB4_100
; %bb.31:
	v_cmp_lt_i64_e64 s[0:1], s[22:23], 1
	s_and_b64 vcc, exec, s[0:1]
	s_cbranch_vccnz .LBB4_100
; %bb.32:
	v_div_scale_f32 v5, s[0:1], v27, v27, v25
	v_div_scale_f32 v6, vcc, v25, v27, v25
	v_mov_b32_e32 v3, 0x10000
	v_mov_b32_e32 v4, 0
	s_load_dword s6, s[4:5], 0xd64
	v_cmp_lt_i64_e64 s[2:3], s[22:23], v[3:4]
	v_cmp_lt_u64_e64 s[4:5], s[22:23], v[3:4]
	s_and_b64 s[2:3], s[2:3], exec
	v_mov_b32_e32 v2, 0
	v_lshlrev_b32_e32 v1, 1, v0
	s_cselect_b32 s21, s23, 0
	s_cselect_b32 s20, s22, 0x10000
	s_waitcnt lgkmcnt(0)
	s_and_b32 s6, s6, 0xffff
	v_mov_b32_e32 v7, s29
	v_rcp_f32_e32 v9, v5
	v_mov_b32_e32 v8, s13
	s_and_b64 s[2:3], s[4:5], exec
	s_cselect_b32 s23, s23, 0
	v_fma_f32 v3, -v5, v9, 1.0
	v_fmac_f32_e32 v9, v3, v9
	v_mul_f32_e32 v3, v6, v9
	v_fma_f32 v4, -v5, v3, v6
	v_fmac_f32_e32 v3, v4, v9
	v_fma_f32 v4, -v5, v3, v6
	v_div_fmas_f32 v5, v4, v9, v3
	v_mad_u64_u32 v[3:4], s[2:3], s6, 6, v[1:2]
	s_cselect_b32 s22, s22, 0x10000
	s_lshl_b32 s4, s6, 1
	v_add_co_u32_e32 v12, vcc, s28, v3
	v_addc_co_u32_e32 v13, vcc, v7, v4, vcc
	v_add_co_u32_e32 v15, vcc, s12, v3
	v_addc_co_u32_e32 v16, vcc, v8, v4, vcc
	v_add_co_u32_e32 v17, vcc, s30, v3
	s_cmp_lg_u64 s[16:17], 0
	v_div_fixup_f32 v14, v5, v27, v25
	v_mov_b32_e32 v5, s31
	v_addc_co_u32_e32 v18, vcc, v5, v4, vcc
	v_mov_b32_e32 v5, s11
	v_add_co_u32_e32 v19, vcc, s10, v3
	s_cselect_b64 s[24:25], -1, 0
	s_lshl_b32 s33, s6, 2
	v_addc_co_u32_e32 v20, vcc, v5, v4, vcc
	v_add_co_u32_e32 v3, vcc, s33, v1
	v_mul_f32_e32 v11, v25, v26
	v_addc_co_u32_e64 v4, s[2:3], 0, 0, vcc
	v_mov_b32_e32 v5, s29
	v_add_co_u32_e32 v25, vcc, s28, v3
	v_cmp_neq_f32_e64 s[0:1], 0, v26
	v_addc_co_u32_e32 v26, vcc, v5, v4, vcc
	v_mov_b32_e32 v5, s13
	v_add_co_u32_e32 v27, vcc, s12, v3
	v_addc_co_u32_e32 v28, vcc, v5, v4, vcc
	v_mov_b32_e32 v5, s31
	v_add_co_u32_e32 v29, vcc, s30, v3
	;; [unrolled: 3-line block ×7, first 2 shown]
	v_addc_co_u32_e32 v39, vcc, 0, v3, vcc
	v_add_co_u32_e32 v40, vcc, s6, v0
	v_lshlrev_b32_e32 v3, 1, v40
	v_addc_co_u32_e64 v41, s[2:3], 0, 0, vcc
	v_mov_b32_e32 v4, s29
	v_add_co_u32_e32 v42, vcc, s28, v3
	v_addc_co_u32_e32 v43, vcc, 0, v4, vcc
	v_mov_b32_e32 v4, s13
	v_add_co_u32_e32 v44, vcc, s12, v3
	v_addc_co_u32_e32 v45, vcc, 0, v4, vcc
	;; [unrolled: 3-line block ×3, first 2 shown]
	v_mov_b32_e32 v4, s11
	v_add_co_u32_e32 v48, vcc, s10, v3
	s_mul_i32 s5, s6, 3
	v_addc_co_u32_e32 v49, vcc, 0, v4, vcc
	v_add_co_u32_e32 v50, vcc, s5, v0
	v_addc_co_u32_e64 v51, s[2:3], 0, 0, vcc
	v_add_co_u32_e32 v52, vcc, s4, v0
	s_mov_b32 s34, 0
	s_mov_b64 s[26:27], 0
	s_lshl_b32 s35, s6, 3
	s_movk_i32 s30, 0x7fff
	s_mov_b32 s31, 0xf800000
	v_addc_co_u32_e64 v53, s[2:3], 0, 0, vcc
	v_mov_b32_e32 v54, 0x260
	v_mov_b32_e32 v55, 0x7fc0
	;; [unrolled: 1-line block ×3, first 2 shown]
	s_branch .LBB4_34
.LBB4_33:                               ;   in Loop: Header=BB4_34 Depth=1
	s_or_b64 exec, exec, s[2:3]
	v_add_co_u32_e32 v33, vcc, s35, v33
	v_addc_co_u32_e32 v34, vcc, 0, v34, vcc
	v_add_co_u32_e32 v35, vcc, s35, v35
	v_addc_co_u32_e32 v36, vcc, 0, v36, vcc
	v_add_co_u32_e32 v37, vcc, s35, v37
	v_addc_co_u32_e32 v38, vcc, 0, v38, vcc
	v_add_co_u32_e32 v1, vcc, s35, v1
	v_addc_co_u32_e32 v39, vcc, 0, v39, vcc
	v_add_co_u32_e32 v12, vcc, s35, v12
	v_addc_co_u32_e32 v13, vcc, 0, v13, vcc
	v_add_co_u32_e32 v15, vcc, s35, v15
	v_addc_co_u32_e32 v16, vcc, 0, v16, vcc
	v_add_co_u32_e32 v17, vcc, s35, v17
	v_addc_co_u32_e32 v18, vcc, 0, v18, vcc
	v_add_co_u32_e32 v19, vcc, s35, v19
	v_addc_co_u32_e32 v20, vcc, 0, v20, vcc
	v_add_co_u32_e32 v25, vcc, s35, v25
	v_addc_co_u32_e32 v26, vcc, 0, v26, vcc
	v_add_co_u32_e32 v27, vcc, s35, v27
	v_addc_co_u32_e32 v28, vcc, 0, v28, vcc
	v_add_co_u32_e32 v29, vcc, s35, v29
	v_addc_co_u32_e32 v30, vcc, 0, v30, vcc
	v_add_co_u32_e32 v31, vcc, s35, v31
	v_addc_co_u32_e32 v32, vcc, 0, v32, vcc
	v_add_co_u32_e32 v42, vcc, s35, v42
	v_addc_co_u32_e32 v43, vcc, 0, v43, vcc
	v_add_co_u32_e32 v44, vcc, s35, v44
	v_addc_co_u32_e32 v45, vcc, 0, v45, vcc
	s_add_u32 s26, s26, s33
	v_add_co_u32_e32 v46, vcc, s35, v46
	v_mov_b32_e32 v3, s20
	s_addc_u32 s27, s27, 0
	v_addc_co_u32_e32 v47, vcc, 0, v47, vcc
	v_mov_b32_e32 v4, s21
	v_cmp_ge_i64_e32 vcc, s[26:27], v[3:4]
	v_add_co_u32_e64 v48, s[2:3], s35, v48
	v_addc_co_u32_e64 v49, s[2:3], 0, v49, s[2:3]
	s_cbranch_vccnz .LBB4_100
.LBB4_34:                               ; =>This Inner Loop Header: Depth=1
	v_mov_b32_e32 v4, s27
	v_add_co_u32_e32 v3, vcc, s26, v0
	v_addc_co_u32_e32 v4, vcc, 0, v4, vcc
	v_cmp_gt_u64_e64 s[2:3], s[22:23], v[3:4]
	v_mov_b32_e32 v7, 0
	v_mov_b32_e32 v3, 0
	;; [unrolled: 1-line block ×6, first 2 shown]
	s_and_saveexec_b64 s[4:5], s[2:3]
	s_cbranch_execz .LBB4_36
; %bb.35:                               ;   in Loop: Header=BB4_34 Depth=1
	v_mov_b32_e32 v6, s15
	v_add_co_u32_e32 v3, vcc, s14, v35
	v_addc_co_u32_e32 v4, vcc, v36, v6, vcc
	v_add_co_u32_e32 v5, vcc, s14, v33
	v_addc_co_u32_e32 v6, vcc, v34, v6, vcc
	global_load_ushort v9, v[5:6], off
	global_load_ushort v10, v[3:4], off
	v_mov_b32_e32 v6, s34
	v_mov_b32_e32 v4, s34
	s_waitcnt vmcnt(1)
	v_and_b32_e32 v5, 0xffff, v9
	s_waitcnt vmcnt(0)
	v_and_b32_e32 v3, 0xffff, v10
.LBB4_36:                               ;   in Loop: Header=BB4_34 Depth=1
	s_or_b64 exec, exec, s[4:5]
	v_mov_b32_e32 v9, 0
	v_mov_b32_e32 v10, 0
	s_and_saveexec_b64 s[4:5], s[2:3]
	s_cbranch_execz .LBB4_38
; %bb.37:                               ;   in Loop: Header=BB4_34 Depth=1
	v_mov_b32_e32 v10, s15
	v_add_co_u32_e32 v7, vcc, s14, v1
	v_addc_co_u32_e32 v8, vcc, v39, v10, vcc
	v_add_co_u32_e32 v9, vcc, s14, v37
	v_addc_co_u32_e32 v10, vcc, v38, v10, vcc
	global_load_ushort v57, v[9:10], off
	global_load_ushort v58, v[7:8], off
	v_mov_b32_e32 v10, s34
	v_mov_b32_e32 v8, s34
	s_waitcnt vmcnt(1)
	v_and_b32_e32 v9, 0xffff, v57
	s_waitcnt vmcnt(0)
	v_and_b32_e32 v7, 0xffff, v58
.LBB4_38:                               ;   in Loop: Header=BB4_34 Depth=1
	s_or_b64 exec, exec, s[4:5]
	v_mov_b32_e32 v58, s27
	v_add_co_u32_e32 v57, vcc, s26, v40
	v_addc_co_u32_e32 v58, vcc, v41, v58, vcc
	v_cmp_gt_u64_e64 s[4:5], s[22:23], v[57:58]
	s_and_saveexec_b64 s[6:7], s[4:5]
	s_cbranch_execz .LBB4_40
; %bb.39:                               ;   in Loop: Header=BB4_34 Depth=1
	v_mov_b32_e32 v59, s15
	v_add_co_u32_e32 v57, vcc, s14, v42
	v_addc_co_u32_e32 v58, vcc, v43, v59, vcc
	global_load_ushort v60, v[57:58], off
	v_add_co_u32_e32 v57, vcc, s14, v44
	v_addc_co_u32_e32 v58, vcc, v45, v59, vcc
	global_load_ushort v57, v[57:58], off
	s_waitcnt vmcnt(1)
	v_lshl_or_b32 v5, v60, 16, v5
	s_waitcnt vmcnt(0)
	v_lshl_or_b32 v3, v57, 16, v3
.LBB4_40:                               ;   in Loop: Header=BB4_34 Depth=1
	s_or_b64 exec, exec, s[6:7]
	s_and_saveexec_b64 s[6:7], s[4:5]
	s_cbranch_execz .LBB4_42
; %bb.41:                               ;   in Loop: Header=BB4_34 Depth=1
	v_mov_b32_e32 v59, s15
	v_add_co_u32_e32 v57, vcc, s14, v46
	v_addc_co_u32_e32 v58, vcc, v47, v59, vcc
	global_load_ushort v60, v[57:58], off
	v_add_co_u32_e32 v57, vcc, s14, v48
	v_addc_co_u32_e32 v58, vcc, v49, v59, vcc
	global_load_ushort v57, v[57:58], off
	s_waitcnt vmcnt(1)
	v_lshl_or_b32 v9, v60, 16, v9
	s_waitcnt vmcnt(0)
	v_lshl_or_b32 v7, v57, 16, v7
.LBB4_42:                               ;   in Loop: Header=BB4_34 Depth=1
	s_or_b64 exec, exec, s[6:7]
	v_mov_b32_e32 v58, s27
	v_add_co_u32_e32 v57, vcc, s26, v52
	v_addc_co_u32_e32 v58, vcc, v53, v58, vcc
	v_cmp_gt_u64_e64 s[6:7], s[22:23], v[57:58]
	v_cmp_le_u64_e32 vcc, s[22:23], v[57:58]
	s_and_saveexec_b64 s[8:9], vcc
	s_xor_b64 s[8:9], exec, s[8:9]
	s_andn2_saveexec_b64 s[10:11], s[8:9]
	s_cbranch_execz .LBB4_44
; %bb.43:                               ;   in Loop: Header=BB4_34 Depth=1
	v_mov_b32_e32 v59, s15
	v_add_co_u32_e64 v57, s[8:9], s14, v25
	v_addc_co_u32_e64 v58, s[8:9], v26, v59, s[8:9]
	global_load_ushort v60, v[57:58], off
	v_add_co_u32_e64 v57, s[8:9], s14, v27
	v_addc_co_u32_e64 v58, s[8:9], v28, v59, s[8:9]
	global_load_ushort v57, v[57:58], off
	s_waitcnt vmcnt(1)
	v_or_b32_e32 v6, v60, v6
	s_waitcnt vmcnt(0)
	v_or_b32_e32 v4, v57, v4
.LBB4_44:                               ;   in Loop: Header=BB4_34 Depth=1
	s_or_b64 exec, exec, s[10:11]
	s_and_saveexec_b64 s[8:9], vcc
	s_xor_b64 s[8:9], exec, s[8:9]
	s_andn2_saveexec_b64 s[8:9], s[8:9]
	s_cbranch_execz .LBB4_46
; %bb.45:                               ;   in Loop: Header=BB4_34 Depth=1
	v_mov_b32_e32 v59, s15
	v_add_co_u32_e32 v57, vcc, s14, v29
	v_addc_co_u32_e32 v58, vcc, v30, v59, vcc
	global_load_ushort v60, v[57:58], off
	v_add_co_u32_e32 v57, vcc, s14, v31
	v_addc_co_u32_e32 v58, vcc, v32, v59, vcc
	global_load_ushort v57, v[57:58], off
	s_waitcnt vmcnt(1)
	v_or_b32_e32 v10, v60, v10
	s_waitcnt vmcnt(0)
	v_or_b32_e32 v8, v57, v8
.LBB4_46:                               ;   in Loop: Header=BB4_34 Depth=1
	s_or_b64 exec, exec, s[8:9]
	v_mov_b32_e32 v58, s27
	v_add_co_u32_e32 v57, vcc, s26, v50
	v_addc_co_u32_e32 v58, vcc, v51, v58, vcc
	v_cmp_gt_u64_e64 s[8:9], s[22:23], v[57:58]
	s_and_saveexec_b64 s[10:11], s[8:9]
	s_cbranch_execz .LBB4_48
; %bb.47:                               ;   in Loop: Header=BB4_34 Depth=1
	v_mov_b32_e32 v59, s15
	v_add_co_u32_e32 v57, vcc, s14, v12
	v_addc_co_u32_e32 v58, vcc, v13, v59, vcc
	global_load_ushort v60, v[57:58], off
	v_add_co_u32_e32 v57, vcc, s14, v15
	v_addc_co_u32_e32 v58, vcc, v16, v59, vcc
	global_load_ushort v57, v[57:58], off
	v_add_co_u32_e32 v3, vcc, 0, v3
	s_waitcnt vmcnt(1)
	v_lshlrev_b32_e32 v58, 16, v60
	v_or_b32_e32 v6, v58, v6
	s_waitcnt vmcnt(0)
	v_lshlrev_b32_e32 v57, 16, v57
	v_addc_co_u32_e32 v4, vcc, v57, v4, vcc
.LBB4_48:                               ;   in Loop: Header=BB4_34 Depth=1
	s_or_b64 exec, exec, s[10:11]
	s_and_saveexec_b64 s[10:11], s[8:9]
	s_cbranch_execz .LBB4_50
; %bb.49:                               ;   in Loop: Header=BB4_34 Depth=1
	v_mov_b32_e32 v59, s15
	v_add_co_u32_e32 v57, vcc, s14, v17
	v_addc_co_u32_e32 v58, vcc, v18, v59, vcc
	global_load_ushort v60, v[57:58], off
	v_add_co_u32_e32 v57, vcc, s14, v19
	v_addc_co_u32_e32 v58, vcc, v20, v59, vcc
	global_load_ushort v57, v[57:58], off
	v_add_co_u32_e32 v7, vcc, 0, v7
	s_waitcnt vmcnt(1)
	v_lshlrev_b32_e32 v58, 16, v60
	v_or_b32_e32 v10, v58, v10
	s_waitcnt vmcnt(0)
	v_lshlrev_b32_e32 v57, 16, v57
	v_addc_co_u32_e32 v8, vcc, v57, v8, vcc
.LBB4_50:                               ;   in Loop: Header=BB4_34 Depth=1
	s_or_b64 exec, exec, s[10:11]
	v_cndmask_b32_e64 v57, 0, 1, s[24:25]
	v_cmp_ne_u32_e64 s[10:11], 1, v57
	s_andn2_b64 vcc, exec, s[24:25]
	v_lshlrev_b32_e32 v57, 16, v3
	s_cbranch_vccnz .LBB4_52
; %bb.51:                               ;   in Loop: Header=BB4_34 Depth=1
	global_load_dword v58, v2, s[16:17]
	s_waitcnt vmcnt(0)
	v_div_scale_f32 v59, s[12:13], v58, v58, v57
	v_div_scale_f32 v60, vcc, v57, v58, v57
	v_rcp_f32_e32 v61, v59
	v_fma_f32 v62, -v59, v61, 1.0
	v_fmac_f32_e32 v61, v62, v61
	v_mul_f32_e32 v62, v60, v61
	v_fma_f32 v63, -v59, v62, v60
	v_fmac_f32_e32 v62, v63, v61
	v_fma_f32 v59, -v59, v62, v60
	v_div_fmas_f32 v59, v59, v61, v62
	v_div_fixup_f32 v57, v59, v58, v57
.LBB4_52:                               ;   in Loop: Header=BB4_34 Depth=1
	s_and_b64 vcc, exec, s[10:11]
	s_cbranch_vccnz .LBB4_54
; %bb.53:                               ;   in Loop: Header=BB4_34 Depth=1
	v_bfe_u32 v58, v57, 16, 1
	v_add3_u32 v58, v57, v58, s30
	v_cmp_o_f32_e32 vcc, v57, v57
	v_cndmask_b32_sdwa v58, v55, v58, vcc dst_sel:DWORD dst_unused:UNUSED_PAD src0_sel:DWORD src1_sel:WORD_1
	v_and_b32_e32 v3, 0xffff0000, v3
	v_or_b32_e32 v3, v58, v3
.LBB4_54:                               ;   in Loop: Header=BB4_34 Depth=1
	s_and_b64 vcc, exec, s[10:11]
	v_and_b32_e32 v59, 0xffff0000, v3
	s_cbranch_vccnz .LBB4_56
; %bb.55:                               ;   in Loop: Header=BB4_34 Depth=1
	global_load_dword v58, v2, s[16:17]
	s_waitcnt vmcnt(0)
	v_div_scale_f32 v60, s[12:13], v58, v58, v59
	v_div_scale_f32 v61, vcc, v59, v58, v59
	v_rcp_f32_e32 v62, v60
	v_fma_f32 v63, -v60, v62, 1.0
	v_fmac_f32_e32 v62, v63, v62
	v_mul_f32_e32 v63, v61, v62
	v_fma_f32 v64, -v60, v63, v61
	v_fmac_f32_e32 v63, v64, v62
	v_fma_f32 v60, -v60, v63, v61
	v_div_fmas_f32 v60, v60, v62, v63
	v_div_fixup_f32 v59, v60, v58, v59
.LBB4_56:                               ;   in Loop: Header=BB4_34 Depth=1
	s_and_b64 vcc, exec, s[10:11]
	s_cbranch_vccnz .LBB4_58
; %bb.57:                               ;   in Loop: Header=BB4_34 Depth=1
	v_bfe_u32 v58, v59, 16, 1
	v_add3_u32 v58, v59, v58, s30
	v_and_b32_e32 v58, 0xffff0000, v58
	v_cmp_o_f32_e32 vcc, v59, v59
	v_cndmask_b32_e32 v58, v56, v58, vcc
	v_or_b32_sdwa v3, v58, v3 dst_sel:DWORD dst_unused:UNUSED_PAD src0_sel:DWORD src1_sel:WORD_0
.LBB4_58:                               ;   in Loop: Header=BB4_34 Depth=1
	v_alignbit_b32 v58, v4, v3, 16
	s_and_b64 vcc, exec, s[10:11]
	v_and_b32_e32 v62, 0xffff0000, v58
	s_cbranch_vccnz .LBB4_60
; %bb.59:                               ;   in Loop: Header=BB4_34 Depth=1
	global_load_dword v58, v2, s[16:17]
	s_waitcnt vmcnt(0)
	v_div_scale_f32 v60, s[12:13], v58, v58, v62
	v_div_scale_f32 v61, vcc, v62, v58, v62
	v_rcp_f32_e32 v63, v60
	v_fma_f32 v64, -v60, v63, 1.0
	v_fmac_f32_e32 v63, v64, v63
	v_mul_f32_e32 v64, v61, v63
	v_fma_f32 v65, -v60, v64, v61
	v_fmac_f32_e32 v64, v65, v63
	v_fma_f32 v60, -v60, v64, v61
	v_div_fmas_f32 v60, v60, v63, v64
	v_div_fixup_f32 v62, v60, v58, v62
.LBB4_60:                               ;   in Loop: Header=BB4_34 Depth=1
	s_and_b64 vcc, exec, s[10:11]
	s_cbranch_vccnz .LBB4_62
; %bb.61:                               ;   in Loop: Header=BB4_34 Depth=1
	v_bfe_u32 v58, v62, 16, 1
	v_add3_u32 v58, v62, v58, s30
	v_cmp_o_f32_e32 vcc, v62, v62
	v_cndmask_b32_sdwa v58, v55, v58, vcc dst_sel:DWORD dst_unused:UNUSED_PAD src0_sel:DWORD src1_sel:WORD_1
	v_and_b32_e32 v4, 0xffff0000, v4
	v_or_b32_e32 v4, v58, v4
.LBB4_62:                               ;   in Loop: Header=BB4_34 Depth=1
	s_and_b64 vcc, exec, s[10:11]
	v_and_b32_e32 v61, 0xffff0000, v4
	s_cbranch_vccnz .LBB4_64
; %bb.63:                               ;   in Loop: Header=BB4_34 Depth=1
	global_load_dword v58, v2, s[16:17]
	s_waitcnt vmcnt(0)
	v_div_scale_f32 v60, s[12:13], v58, v58, v61
	v_div_scale_f32 v63, vcc, v61, v58, v61
	v_rcp_f32_e32 v64, v60
	v_fma_f32 v65, -v60, v64, 1.0
	v_fmac_f32_e32 v64, v65, v64
	v_mul_f32_e32 v65, v63, v64
	v_fma_f32 v66, -v60, v65, v63
	v_fmac_f32_e32 v65, v66, v64
	v_fma_f32 v60, -v60, v65, v63
	v_div_fmas_f32 v60, v60, v64, v65
	v_div_fixup_f32 v61, v60, v58, v61
.LBB4_64:                               ;   in Loop: Header=BB4_34 Depth=1
	s_and_b64 vcc, exec, s[10:11]
	s_cbranch_vccnz .LBB4_66
; %bb.65:                               ;   in Loop: Header=BB4_34 Depth=1
	v_bfe_u32 v58, v61, 16, 1
	v_add3_u32 v58, v61, v58, s30
	v_and_b32_e32 v58, 0xffff0000, v58
	v_cmp_o_f32_e32 vcc, v61, v61
	v_cndmask_b32_e32 v58, v56, v58, vcc
	v_or_b32_sdwa v4, v58, v4 dst_sel:DWORD dst_unused:UNUSED_PAD src0_sel:DWORD src1_sel:WORD_0
.LBB4_66:                               ;   in Loop: Header=BB4_34 Depth=1
	v_cndmask_b32_e64 v57, v57, -v57, s[18:19]
	v_fma_f32 v58, -v21, v57, v57
	v_mul_f32_e32 v57, v57, v57
	v_lshlrev_b32_e32 v60, 16, v9
	v_lshlrev_b32_e32 v63, 16, v7
	v_fma_f32 v57, -v22, v57, v57
	v_fmac_f32_e32 v58, v21, v60
	v_fmac_f32_e32 v57, v22, v63
	s_and_saveexec_b64 s[28:29], s[2:3]
	s_cbranch_execz .LBB4_68
; %bb.67:                               ;   in Loop: Header=BB4_34 Depth=1
	v_mul_f32_e32 v60, 0x4f800000, v57
	v_cmp_gt_f32_e32 vcc, s31, v57
	v_cndmask_b32_e32 v60, v57, v60, vcc
	v_sqrt_f32_e32 v63, v60
	v_add_u32_e32 v64, -1, v63
	v_fma_f32 v66, -v64, v63, v60
	v_add_u32_e32 v65, 1, v63
	v_cmp_ge_f32_e64 s[12:13], 0, v66
	v_cndmask_b32_e64 v64, v63, v64, s[12:13]
	v_fma_f32 v63, -v65, v63, v60
	v_cmp_lt_f32_e64 s[12:13], 0, v63
	v_cndmask_b32_e64 v63, v64, v65, s[12:13]
	v_mul_f32_e32 v64, 0x37800000, v63
	v_cndmask_b32_e32 v63, v63, v64, vcc
	v_cmp_class_f32_e32 vcc, v60, v54
	v_cndmask_b32_e32 v60, v63, v60, vcc
	v_div_scale_f32 v63, s[12:13], v24, v24, v60
	v_div_scale_f32 v64, vcc, v60, v24, v60
	v_rcp_f32_e32 v65, v63
	v_fma_f32 v66, -v63, v65, 1.0
	v_fmac_f32_e32 v65, v66, v65
	v_mul_f32_e32 v66, v64, v65
	v_fma_f32 v67, -v63, v66, v64
	v_fmac_f32_e32 v66, v67, v65
	v_fma_f32 v63, -v63, v66, v64
	v_div_fmas_f32 v63, v63, v65, v66
	v_mul_f32_e32 v64, v14, v58
	v_div_fixup_f32 v60, v63, v24, v60
	v_add_f32_e32 v60, v60, v23
	v_div_scale_f32 v63, s[12:13], v60, v60, v64
	v_div_scale_f32 v65, vcc, v64, v60, v64
	v_rcp_f32_e32 v66, v63
	v_fma_f32 v67, -v63, v66, 1.0
	v_fmac_f32_e32 v66, v67, v66
	v_mul_f32_e32 v67, v65, v66
	v_fma_f32 v68, -v63, v67, v65
	v_fmac_f32_e32 v67, v68, v66
	v_fma_f32 v63, -v63, v67, v65
	v_div_fmas_f32 v63, v63, v66, v67
	v_lshlrev_b32_e32 v65, 16, v5
	v_fma_f32 v67, -v11, v65, v65
	v_cndmask_b32_e64 v65, v65, v67, s[0:1]
	v_mov_b32_e32 v66, s15
	v_div_fixup_f32 v60, v63, v60, v64
	v_sub_f32_e32 v60, v65, v60
	v_bfe_u32 v63, v60, 16, 1
	v_cmp_o_f32_e32 vcc, v60, v60
	v_add3_u32 v60, v60, v63, s30
	v_cndmask_b32_sdwa v60, v55, v60, vcc dst_sel:DWORD dst_unused:UNUSED_PAD src0_sel:DWORD src1_sel:WORD_1
	v_add_co_u32_e32 v63, vcc, s14, v33
	v_addc_co_u32_e32 v64, vcc, v34, v66, vcc
	global_store_short v[63:64], v60, off
.LBB4_68:                               ;   in Loop: Header=BB4_34 Depth=1
	s_or_b64 exec, exec, s[28:29]
	v_cndmask_b32_e64 v59, v59, -v59, s[18:19]
	v_fma_f32 v60, -v21, v59, v59
	v_mul_f32_e32 v59, v59, v59
	v_and_b32_e32 v63, 0xffff0000, v9
	v_and_b32_e32 v64, 0xffff0000, v7
	v_fma_f32 v59, -v22, v59, v59
	v_fmac_f32_e32 v60, v21, v63
	v_fmac_f32_e32 v59, v22, v64
	s_and_saveexec_b64 s[28:29], s[4:5]
	s_cbranch_execz .LBB4_70
; %bb.69:                               ;   in Loop: Header=BB4_34 Depth=1
	v_mul_f32_e32 v63, 0x4f800000, v59
	v_cmp_gt_f32_e32 vcc, s31, v59
	v_cndmask_b32_e32 v63, v59, v63, vcc
	v_sqrt_f32_e32 v64, v63
	v_add_u32_e32 v65, -1, v64
	v_fma_f32 v67, -v65, v64, v63
	v_add_u32_e32 v66, 1, v64
	v_cmp_ge_f32_e64 s[12:13], 0, v67
	v_cndmask_b32_e64 v65, v64, v65, s[12:13]
	v_fma_f32 v64, -v66, v64, v63
	v_cmp_lt_f32_e64 s[12:13], 0, v64
	v_cndmask_b32_e64 v64, v65, v66, s[12:13]
	v_mul_f32_e32 v65, 0x37800000, v64
	v_cndmask_b32_e32 v64, v64, v65, vcc
	v_cmp_class_f32_e32 vcc, v63, v54
	v_cndmask_b32_e32 v63, v64, v63, vcc
	v_div_scale_f32 v64, s[12:13], v24, v24, v63
	v_div_scale_f32 v65, vcc, v63, v24, v63
	v_rcp_f32_e32 v66, v64
	v_fma_f32 v67, -v64, v66, 1.0
	v_fmac_f32_e32 v66, v67, v66
	v_mul_f32_e32 v67, v65, v66
	v_fma_f32 v68, -v64, v67, v65
	v_fmac_f32_e32 v67, v68, v66
	v_fma_f32 v64, -v64, v67, v65
	v_div_fmas_f32 v64, v64, v66, v67
	v_mul_f32_e32 v65, v14, v60
	v_div_fixup_f32 v63, v64, v24, v63
	v_add_f32_e32 v63, v63, v23
	v_div_scale_f32 v64, s[12:13], v63, v63, v65
	v_div_scale_f32 v66, vcc, v65, v63, v65
	v_rcp_f32_e32 v67, v64
	v_fma_f32 v68, -v64, v67, 1.0
	v_fmac_f32_e32 v67, v68, v67
	v_mul_f32_e32 v68, v66, v67
	v_fma_f32 v69, -v64, v68, v66
	v_fmac_f32_e32 v68, v69, v67
	v_fma_f32 v64, -v64, v68, v66
	v_div_fmas_f32 v64, v64, v67, v68
	v_and_b32_e32 v66, 0xffff0000, v5
	v_fma_f32 v68, -v11, v66, v66
	v_cndmask_b32_e64 v66, v66, v68, s[0:1]
	v_mov_b32_e32 v67, s15
	v_div_fixup_f32 v63, v64, v63, v65
	v_sub_f32_e32 v63, v66, v63
	v_bfe_u32 v64, v63, 16, 1
	v_cmp_o_f32_e32 vcc, v63, v63
	v_add3_u32 v63, v63, v64, s30
	v_cndmask_b32_sdwa v65, v55, v63, vcc dst_sel:DWORD dst_unused:UNUSED_PAD src0_sel:DWORD src1_sel:WORD_1
	v_add_co_u32_e32 v63, vcc, s14, v42
	v_addc_co_u32_e32 v64, vcc, v43, v67, vcc
	global_store_short v[63:64], v65, off
.LBB4_70:                               ;   in Loop: Header=BB4_34 Depth=1
	s_or_b64 exec, exec, s[28:29]
	v_alignbit_b32 v7, v8, v7, 16
	v_alignbit_b32 v9, v10, v9, 16
	v_and_b32_e32 v64, 0xffff0000, v7
	v_cndmask_b32_e64 v7, v62, -v62, s[18:19]
	v_and_b32_e32 v63, 0xffff0000, v9
	v_fma_f32 v9, -v21, v7, v7
	v_mul_f32_e32 v7, v7, v7
	v_fma_f32 v7, -v22, v7, v7
	v_fmac_f32_e32 v9, v21, v63
	v_fmac_f32_e32 v7, v22, v64
	s_and_saveexec_b64 s[28:29], s[6:7]
	s_cbranch_execz .LBB4_72
; %bb.71:                               ;   in Loop: Header=BB4_34 Depth=1
	v_mul_f32_e32 v62, 0x4f800000, v7
	v_cmp_gt_f32_e32 vcc, s31, v7
	v_cndmask_b32_e32 v62, v7, v62, vcc
	v_sqrt_f32_e32 v63, v62
	v_alignbit_b32 v5, v6, v5, 16
	v_and_b32_e32 v5, 0xffff0000, v5
	v_add_u32_e32 v64, -1, v63
	v_fma_f32 v66, -v64, v63, v62
	v_add_u32_e32 v65, 1, v63
	v_cmp_ge_f32_e64 s[12:13], 0, v66
	v_cndmask_b32_e64 v64, v63, v64, s[12:13]
	v_fma_f32 v63, -v65, v63, v62
	v_cmp_lt_f32_e64 s[12:13], 0, v63
	v_cndmask_b32_e64 v63, v64, v65, s[12:13]
	v_mul_f32_e32 v64, 0x37800000, v63
	v_cndmask_b32_e32 v63, v63, v64, vcc
	v_cmp_class_f32_e32 vcc, v62, v54
	v_cndmask_b32_e32 v62, v63, v62, vcc
	v_div_scale_f32 v63, s[12:13], v24, v24, v62
	v_div_scale_f32 v64, vcc, v62, v24, v62
	v_rcp_f32_e32 v65, v63
	v_fma_f32 v66, -v63, v65, 1.0
	v_fmac_f32_e32 v65, v66, v65
	v_mul_f32_e32 v66, v64, v65
	v_fma_f32 v67, -v63, v66, v64
	v_fmac_f32_e32 v66, v67, v65
	v_fma_f32 v63, -v63, v66, v64
	v_div_fmas_f32 v63, v63, v65, v66
	v_mul_f32_e32 v64, v14, v9
	v_div_fixup_f32 v62, v63, v24, v62
	v_add_f32_e32 v62, v62, v23
	v_div_scale_f32 v63, s[12:13], v62, v62, v64
	v_div_scale_f32 v65, vcc, v64, v62, v64
	v_rcp_f32_e32 v66, v63
	v_fma_f32 v67, -v63, v66, 1.0
	v_fmac_f32_e32 v66, v67, v66
	v_mul_f32_e32 v67, v65, v66
	v_fma_f32 v68, -v63, v67, v65
	v_fmac_f32_e32 v67, v68, v66
	v_fma_f32 v63, -v63, v67, v65
	v_div_fmas_f32 v63, v63, v66, v67
	v_fma_f32 v66, -v11, v5, v5
	v_cndmask_b32_e64 v5, v5, v66, s[0:1]
	v_mov_b32_e32 v65, s15
	v_div_fixup_f32 v62, v63, v62, v64
	v_sub_f32_e32 v5, v5, v62
	v_bfe_u32 v62, v5, 16, 1
	v_cmp_o_f32_e32 vcc, v5, v5
	v_add3_u32 v5, v5, v62, s30
	v_cndmask_b32_sdwa v5, v55, v5, vcc dst_sel:DWORD dst_unused:UNUSED_PAD src0_sel:DWORD src1_sel:WORD_1
	v_add_co_u32_e32 v62, vcc, s14, v25
	v_addc_co_u32_e32 v63, vcc, v26, v65, vcc
	global_store_short v[62:63], v5, off
.LBB4_72:                               ;   in Loop: Header=BB4_34 Depth=1
	s_or_b64 exec, exec, s[28:29]
	v_cndmask_b32_e64 v61, v61, -v61, s[18:19]
	v_and_b32_e32 v5, 0xffff0000, v10
	v_and_b32_e32 v10, 0xffff0000, v8
	v_fma_f32 v8, -v21, v61, v61
	v_fmac_f32_e32 v8, v21, v5
	v_mul_f32_e32 v5, v61, v61
	v_fma_f32 v5, -v22, v5, v5
	v_fmac_f32_e32 v5, v22, v10
	s_and_saveexec_b64 s[28:29], s[8:9]
	s_cbranch_execz .LBB4_74
; %bb.73:                               ;   in Loop: Header=BB4_34 Depth=1
	v_mul_f32_e32 v10, 0x4f800000, v5
	v_cmp_gt_f32_e32 vcc, s31, v5
	v_cndmask_b32_e32 v10, v5, v10, vcc
	v_sqrt_f32_e32 v61, v10
	v_and_b32_e32 v6, 0xffff0000, v6
	v_add_u32_e32 v62, -1, v61
	v_fma_f32 v64, -v62, v61, v10
	v_add_u32_e32 v63, 1, v61
	v_cmp_ge_f32_e64 s[12:13], 0, v64
	v_cndmask_b32_e64 v62, v61, v62, s[12:13]
	v_fma_f32 v61, -v63, v61, v10
	v_cmp_lt_f32_e64 s[12:13], 0, v61
	v_cndmask_b32_e64 v61, v62, v63, s[12:13]
	v_mul_f32_e32 v62, 0x37800000, v61
	v_cndmask_b32_e32 v61, v61, v62, vcc
	v_cmp_class_f32_e32 vcc, v10, v54
	v_cndmask_b32_e32 v10, v61, v10, vcc
	v_div_scale_f32 v61, s[12:13], v24, v24, v10
	v_div_scale_f32 v62, vcc, v10, v24, v10
	v_rcp_f32_e32 v63, v61
	v_fma_f32 v64, -v61, v63, 1.0
	v_fmac_f32_e32 v63, v64, v63
	v_mul_f32_e32 v64, v62, v63
	v_fma_f32 v65, -v61, v64, v62
	v_fmac_f32_e32 v64, v65, v63
	v_fma_f32 v61, -v61, v64, v62
	v_div_fmas_f32 v61, v61, v63, v64
	v_mul_f32_e32 v62, v14, v8
	v_div_fixup_f32 v10, v61, v24, v10
	v_add_f32_e32 v10, v10, v23
	v_div_scale_f32 v61, s[12:13], v10, v10, v62
	v_div_scale_f32 v63, vcc, v62, v10, v62
	v_rcp_f32_e32 v64, v61
	v_fma_f32 v65, -v61, v64, 1.0
	v_fmac_f32_e32 v64, v65, v64
	v_mul_f32_e32 v65, v63, v64
	v_fma_f32 v66, -v61, v65, v63
	v_fmac_f32_e32 v65, v66, v64
	v_fma_f32 v61, -v61, v65, v63
	v_div_fmas_f32 v61, v61, v64, v65
	v_fma_f32 v64, -v11, v6, v6
	v_cndmask_b32_e64 v6, v6, v64, s[0:1]
	v_mov_b32_e32 v63, s15
	v_div_fixup_f32 v10, v61, v10, v62
	v_sub_f32_e32 v6, v6, v10
	v_bfe_u32 v10, v6, 16, 1
	v_cmp_o_f32_e32 vcc, v6, v6
	v_add3_u32 v6, v6, v10, s30
	v_cndmask_b32_sdwa v6, v55, v6, vcc dst_sel:DWORD dst_unused:UNUSED_PAD src0_sel:DWORD src1_sel:WORD_1
	v_add_co_u32_e32 v61, vcc, s14, v12
	v_addc_co_u32_e32 v62, vcc, v13, v63, vcc
	global_store_short v[61:62], v6, off
.LBB4_74:                               ;   in Loop: Header=BB4_34 Depth=1
	s_or_b64 exec, exec, s[28:29]
	s_and_b64 vcc, exec, s[10:11]
	s_cbranch_vccnz .LBB4_81
; %bb.75:                               ;   in Loop: Header=BB4_34 Depth=1
	s_and_saveexec_b64 s[10:11], s[2:3]
	s_cbranch_execnz .LBB4_97
; %bb.76:                               ;   in Loop: Header=BB4_34 Depth=1
	s_or_b64 exec, exec, s[10:11]
	s_and_saveexec_b64 s[10:11], s[4:5]
	s_cbranch_execnz .LBB4_98
.LBB4_77:                               ;   in Loop: Header=BB4_34 Depth=1
	s_or_b64 exec, exec, s[10:11]
	s_and_saveexec_b64 s[10:11], s[6:7]
	s_cbranch_execnz .LBB4_99
.LBB4_78:                               ;   in Loop: Header=BB4_34 Depth=1
	s_or_b64 exec, exec, s[10:11]
	s_and_saveexec_b64 s[10:11], s[8:9]
	s_cbranch_execz .LBB4_80
.LBB4_79:                               ;   in Loop: Header=BB4_34 Depth=1
	v_mov_b32_e32 v3, s15
	v_add_co_u32_e32 v61, vcc, s14, v15
	v_addc_co_u32_e32 v62, vcc, v16, v3, vcc
	global_store_short_d16_hi v[61:62], v4, off
.LBB4_80:                               ;   in Loop: Header=BB4_34 Depth=1
	s_or_b64 exec, exec, s[10:11]
.LBB4_81:                               ;   in Loop: Header=BB4_34 Depth=1
	s_and_saveexec_b64 s[10:11], s[2:3]
	s_cbranch_execnz .LBB4_89
; %bb.82:                               ;   in Loop: Header=BB4_34 Depth=1
	s_or_b64 exec, exec, s[10:11]
	s_and_saveexec_b64 s[10:11], s[4:5]
	s_cbranch_execnz .LBB4_90
.LBB4_83:                               ;   in Loop: Header=BB4_34 Depth=1
	s_or_b64 exec, exec, s[10:11]
	s_and_saveexec_b64 s[10:11], s[6:7]
	s_cbranch_execnz .LBB4_91
.LBB4_84:                               ;   in Loop: Header=BB4_34 Depth=1
	s_or_b64 exec, exec, s[10:11]
	s_and_saveexec_b64 s[10:11], s[8:9]
	s_cbranch_execnz .LBB4_92
.LBB4_85:                               ;   in Loop: Header=BB4_34 Depth=1
	s_or_b64 exec, exec, s[10:11]
	s_and_saveexec_b64 s[10:11], s[2:3]
	s_cbranch_execnz .LBB4_93
.LBB4_86:                               ;   in Loop: Header=BB4_34 Depth=1
	s_or_b64 exec, exec, s[10:11]
	s_and_saveexec_b64 s[2:3], s[4:5]
	s_cbranch_execnz .LBB4_94
.LBB4_87:                               ;   in Loop: Header=BB4_34 Depth=1
	s_or_b64 exec, exec, s[2:3]
	s_and_saveexec_b64 s[2:3], s[6:7]
	s_cbranch_execnz .LBB4_95
.LBB4_88:                               ;   in Loop: Header=BB4_34 Depth=1
	s_or_b64 exec, exec, s[2:3]
	s_and_saveexec_b64 s[2:3], s[8:9]
	s_cbranch_execz .LBB4_33
	s_branch .LBB4_96
.LBB4_89:                               ;   in Loop: Header=BB4_34 Depth=1
	v_bfe_u32 v3, v58, 16, 1
	v_add3_u32 v3, v58, v3, s30
	v_cmp_o_f32_e32 vcc, v58, v58
	v_cndmask_b32_sdwa v6, v55, v3, vcc dst_sel:DWORD dst_unused:UNUSED_PAD src0_sel:DWORD src1_sel:WORD_1
	v_mov_b32_e32 v4, s15
	v_add_co_u32_e32 v3, vcc, s14, v37
	v_addc_co_u32_e32 v4, vcc, v38, v4, vcc
	global_store_short v[3:4], v6, off
	s_or_b64 exec, exec, s[10:11]
	s_and_saveexec_b64 s[10:11], s[4:5]
	s_cbranch_execz .LBB4_83
.LBB4_90:                               ;   in Loop: Header=BB4_34 Depth=1
	v_bfe_u32 v3, v60, 16, 1
	v_add3_u32 v3, v60, v3, s30
	v_cmp_o_f32_e32 vcc, v60, v60
	v_cndmask_b32_sdwa v6, v55, v3, vcc dst_sel:DWORD dst_unused:UNUSED_PAD src0_sel:DWORD src1_sel:WORD_1
	v_mov_b32_e32 v4, s15
	v_add_co_u32_e32 v3, vcc, s14, v46
	v_addc_co_u32_e32 v4, vcc, v47, v4, vcc
	global_store_short v[3:4], v6, off
	s_or_b64 exec, exec, s[10:11]
	s_and_saveexec_b64 s[10:11], s[6:7]
	s_cbranch_execz .LBB4_84
.LBB4_91:                               ;   in Loop: Header=BB4_34 Depth=1
	v_bfe_u32 v3, v9, 16, 1
	v_add3_u32 v3, v9, v3, s30
	v_cmp_o_f32_e32 vcc, v9, v9
	v_cndmask_b32_sdwa v6, v55, v3, vcc dst_sel:DWORD dst_unused:UNUSED_PAD src0_sel:DWORD src1_sel:WORD_1
	v_mov_b32_e32 v4, s15
	v_add_co_u32_e32 v3, vcc, s14, v29
	v_addc_co_u32_e32 v4, vcc, v30, v4, vcc
	global_store_short v[3:4], v6, off
	s_or_b64 exec, exec, s[10:11]
	s_and_saveexec_b64 s[10:11], s[8:9]
	s_cbranch_execz .LBB4_85
.LBB4_92:                               ;   in Loop: Header=BB4_34 Depth=1
	v_bfe_u32 v3, v8, 16, 1
	v_add3_u32 v3, v8, v3, s30
	v_cmp_o_f32_e32 vcc, v8, v8
	v_cndmask_b32_sdwa v6, v55, v3, vcc dst_sel:DWORD dst_unused:UNUSED_PAD src0_sel:DWORD src1_sel:WORD_1
	v_mov_b32_e32 v4, s15
	v_add_co_u32_e32 v3, vcc, s14, v17
	v_addc_co_u32_e32 v4, vcc, v18, v4, vcc
	global_store_short v[3:4], v6, off
	s_or_b64 exec, exec, s[10:11]
	s_and_saveexec_b64 s[10:11], s[2:3]
	s_cbranch_execz .LBB4_86
.LBB4_93:                               ;   in Loop: Header=BB4_34 Depth=1
	v_bfe_u32 v3, v57, 16, 1
	v_add3_u32 v3, v57, v3, s30
	v_cmp_o_f32_e32 vcc, v57, v57
	v_cndmask_b32_sdwa v6, v55, v3, vcc dst_sel:DWORD dst_unused:UNUSED_PAD src0_sel:DWORD src1_sel:WORD_1
	v_mov_b32_e32 v4, s15
	v_add_co_u32_e32 v3, vcc, s14, v1
	v_addc_co_u32_e32 v4, vcc, v39, v4, vcc
	global_store_short v[3:4], v6, off
	s_or_b64 exec, exec, s[10:11]
	s_and_saveexec_b64 s[2:3], s[4:5]
	s_cbranch_execz .LBB4_87
.LBB4_94:                               ;   in Loop: Header=BB4_34 Depth=1
	v_bfe_u32 v3, v59, 16, 1
	v_add3_u32 v3, v59, v3, s30
	v_cmp_o_f32_e32 vcc, v59, v59
	v_cndmask_b32_sdwa v6, v55, v3, vcc dst_sel:DWORD dst_unused:UNUSED_PAD src0_sel:DWORD src1_sel:WORD_1
	v_mov_b32_e32 v4, s15
	v_add_co_u32_e32 v3, vcc, s14, v48
	v_addc_co_u32_e32 v4, vcc, v49, v4, vcc
	global_store_short v[3:4], v6, off
	s_or_b64 exec, exec, s[2:3]
	s_and_saveexec_b64 s[2:3], s[6:7]
	s_cbranch_execz .LBB4_88
.LBB4_95:                               ;   in Loop: Header=BB4_34 Depth=1
	v_bfe_u32 v3, v7, 16, 1
	v_add3_u32 v3, v7, v3, s30
	v_cmp_o_f32_e32 vcc, v7, v7
	v_cndmask_b32_sdwa v6, v55, v3, vcc dst_sel:DWORD dst_unused:UNUSED_PAD src0_sel:DWORD src1_sel:WORD_1
	v_mov_b32_e32 v4, s15
	v_add_co_u32_e32 v3, vcc, s14, v31
	v_addc_co_u32_e32 v4, vcc, v32, v4, vcc
	global_store_short v[3:4], v6, off
	s_or_b64 exec, exec, s[2:3]
	s_and_saveexec_b64 s[2:3], s[8:9]
	s_cbranch_execz .LBB4_33
.LBB4_96:                               ;   in Loop: Header=BB4_34 Depth=1
	v_bfe_u32 v3, v5, 16, 1
	v_add3_u32 v3, v5, v3, s30
	v_cmp_o_f32_e32 vcc, v5, v5
	v_cndmask_b32_sdwa v5, v55, v3, vcc dst_sel:DWORD dst_unused:UNUSED_PAD src0_sel:DWORD src1_sel:WORD_1
	v_mov_b32_e32 v4, s15
	v_add_co_u32_e32 v3, vcc, s14, v19
	v_addc_co_u32_e32 v4, vcc, v20, v4, vcc
	global_store_short v[3:4], v5, off
	s_branch .LBB4_33
.LBB4_97:                               ;   in Loop: Header=BB4_34 Depth=1
	v_mov_b32_e32 v6, s15
	v_add_co_u32_e32 v61, vcc, s14, v35
	v_addc_co_u32_e32 v62, vcc, v36, v6, vcc
	global_store_short v[61:62], v3, off
	s_or_b64 exec, exec, s[10:11]
	s_and_saveexec_b64 s[10:11], s[4:5]
	s_cbranch_execz .LBB4_77
.LBB4_98:                               ;   in Loop: Header=BB4_34 Depth=1
	v_mov_b32_e32 v6, s15
	v_add_co_u32_e32 v61, vcc, s14, v44
	v_addc_co_u32_e32 v62, vcc, v45, v6, vcc
	global_store_short_d16_hi v[61:62], v3, off
	s_or_b64 exec, exec, s[10:11]
	s_and_saveexec_b64 s[10:11], s[6:7]
	s_cbranch_execz .LBB4_78
.LBB4_99:                               ;   in Loop: Header=BB4_34 Depth=1
	v_mov_b32_e32 v3, s15
	v_add_co_u32_e32 v61, vcc, s14, v27
	v_addc_co_u32_e32 v62, vcc, v28, v3, vcc
	global_store_short v[61:62], v4, off
	s_or_b64 exec, exec, s[10:11]
	s_and_saveexec_b64 s[10:11], s[8:9]
	s_cbranch_execnz .LBB4_79
	s_branch .LBB4_80
.LBB4_100:
	s_endpgm
	.section	.rodata,"a",@progbits
	.p2align	6, 0x0
	.amdhsa_kernel _ZN2at6native12_GLOBAL__N_125multi_tensor_apply_kernelINS1_32FusedOptimizerTensorListMetadataILi4EEENS1_20FusedAdamMathFunctorIN3c108BFloat16ELi4ELNS0_9ADAM_MODEE1ELb0EEEJPKfdddddbSB_SB_EEEvT_T0_DpT1_
		.amdhsa_group_segment_fixed_size 0
		.amdhsa_private_segment_fixed_size 0
		.amdhsa_kernarg_size 3672
		.amdhsa_user_sgpr_count 6
		.amdhsa_user_sgpr_private_segment_buffer 1
		.amdhsa_user_sgpr_dispatch_ptr 0
		.amdhsa_user_sgpr_queue_ptr 0
		.amdhsa_user_sgpr_kernarg_segment_ptr 1
		.amdhsa_user_sgpr_dispatch_id 0
		.amdhsa_user_sgpr_flat_scratch_init 0
		.amdhsa_user_sgpr_private_segment_size 0
		.amdhsa_uses_dynamic_stack 0
		.amdhsa_system_sgpr_private_segment_wavefront_offset 0
		.amdhsa_system_sgpr_workgroup_id_x 1
		.amdhsa_system_sgpr_workgroup_id_y 0
		.amdhsa_system_sgpr_workgroup_id_z 0
		.amdhsa_system_sgpr_workgroup_info 0
		.amdhsa_system_vgpr_workitem_id 0
		.amdhsa_next_free_vgpr 70
		.amdhsa_next_free_sgpr 39
		.amdhsa_reserve_vcc 1
		.amdhsa_reserve_flat_scratch 0
		.amdhsa_float_round_mode_32 0
		.amdhsa_float_round_mode_16_64 0
		.amdhsa_float_denorm_mode_32 3
		.amdhsa_float_denorm_mode_16_64 3
		.amdhsa_dx10_clamp 1
		.amdhsa_ieee_mode 1
		.amdhsa_fp16_overflow 0
		.amdhsa_exception_fp_ieee_invalid_op 0
		.amdhsa_exception_fp_denorm_src 0
		.amdhsa_exception_fp_ieee_div_zero 0
		.amdhsa_exception_fp_ieee_overflow 0
		.amdhsa_exception_fp_ieee_underflow 0
		.amdhsa_exception_fp_ieee_inexact 0
		.amdhsa_exception_int_div_zero 0
	.end_amdhsa_kernel
	.section	.text._ZN2at6native12_GLOBAL__N_125multi_tensor_apply_kernelINS1_32FusedOptimizerTensorListMetadataILi4EEENS1_20FusedAdamMathFunctorIN3c108BFloat16ELi4ELNS0_9ADAM_MODEE1ELb0EEEJPKfdddddbSB_SB_EEEvT_T0_DpT1_,"axG",@progbits,_ZN2at6native12_GLOBAL__N_125multi_tensor_apply_kernelINS1_32FusedOptimizerTensorListMetadataILi4EEENS1_20FusedAdamMathFunctorIN3c108BFloat16ELi4ELNS0_9ADAM_MODEE1ELb0EEEJPKfdddddbSB_SB_EEEvT_T0_DpT1_,comdat
.Lfunc_end4:
	.size	_ZN2at6native12_GLOBAL__N_125multi_tensor_apply_kernelINS1_32FusedOptimizerTensorListMetadataILi4EEENS1_20FusedAdamMathFunctorIN3c108BFloat16ELi4ELNS0_9ADAM_MODEE1ELb0EEEJPKfdddddbSB_SB_EEEvT_T0_DpT1_, .Lfunc_end4-_ZN2at6native12_GLOBAL__N_125multi_tensor_apply_kernelINS1_32FusedOptimizerTensorListMetadataILi4EEENS1_20FusedAdamMathFunctorIN3c108BFloat16ELi4ELNS0_9ADAM_MODEE1ELb0EEEJPKfdddddbSB_SB_EEEvT_T0_DpT1_
                                        ; -- End function
	.set _ZN2at6native12_GLOBAL__N_125multi_tensor_apply_kernelINS1_32FusedOptimizerTensorListMetadataILi4EEENS1_20FusedAdamMathFunctorIN3c108BFloat16ELi4ELNS0_9ADAM_MODEE1ELb0EEEJPKfdddddbSB_SB_EEEvT_T0_DpT1_.num_vgpr, 70
	.set _ZN2at6native12_GLOBAL__N_125multi_tensor_apply_kernelINS1_32FusedOptimizerTensorListMetadataILi4EEENS1_20FusedAdamMathFunctorIN3c108BFloat16ELi4ELNS0_9ADAM_MODEE1ELb0EEEJPKfdddddbSB_SB_EEEvT_T0_DpT1_.num_agpr, 0
	.set _ZN2at6native12_GLOBAL__N_125multi_tensor_apply_kernelINS1_32FusedOptimizerTensorListMetadataILi4EEENS1_20FusedAdamMathFunctorIN3c108BFloat16ELi4ELNS0_9ADAM_MODEE1ELb0EEEJPKfdddddbSB_SB_EEEvT_T0_DpT1_.numbered_sgpr, 39
	.set _ZN2at6native12_GLOBAL__N_125multi_tensor_apply_kernelINS1_32FusedOptimizerTensorListMetadataILi4EEENS1_20FusedAdamMathFunctorIN3c108BFloat16ELi4ELNS0_9ADAM_MODEE1ELb0EEEJPKfdddddbSB_SB_EEEvT_T0_DpT1_.num_named_barrier, 0
	.set _ZN2at6native12_GLOBAL__N_125multi_tensor_apply_kernelINS1_32FusedOptimizerTensorListMetadataILi4EEENS1_20FusedAdamMathFunctorIN3c108BFloat16ELi4ELNS0_9ADAM_MODEE1ELb0EEEJPKfdddddbSB_SB_EEEvT_T0_DpT1_.private_seg_size, 0
	.set _ZN2at6native12_GLOBAL__N_125multi_tensor_apply_kernelINS1_32FusedOptimizerTensorListMetadataILi4EEENS1_20FusedAdamMathFunctorIN3c108BFloat16ELi4ELNS0_9ADAM_MODEE1ELb0EEEJPKfdddddbSB_SB_EEEvT_T0_DpT1_.uses_vcc, 1
	.set _ZN2at6native12_GLOBAL__N_125multi_tensor_apply_kernelINS1_32FusedOptimizerTensorListMetadataILi4EEENS1_20FusedAdamMathFunctorIN3c108BFloat16ELi4ELNS0_9ADAM_MODEE1ELb0EEEJPKfdddddbSB_SB_EEEvT_T0_DpT1_.uses_flat_scratch, 0
	.set _ZN2at6native12_GLOBAL__N_125multi_tensor_apply_kernelINS1_32FusedOptimizerTensorListMetadataILi4EEENS1_20FusedAdamMathFunctorIN3c108BFloat16ELi4ELNS0_9ADAM_MODEE1ELb0EEEJPKfdddddbSB_SB_EEEvT_T0_DpT1_.has_dyn_sized_stack, 0
	.set _ZN2at6native12_GLOBAL__N_125multi_tensor_apply_kernelINS1_32FusedOptimizerTensorListMetadataILi4EEENS1_20FusedAdamMathFunctorIN3c108BFloat16ELi4ELNS0_9ADAM_MODEE1ELb0EEEJPKfdddddbSB_SB_EEEvT_T0_DpT1_.has_recursion, 0
	.set _ZN2at6native12_GLOBAL__N_125multi_tensor_apply_kernelINS1_32FusedOptimizerTensorListMetadataILi4EEENS1_20FusedAdamMathFunctorIN3c108BFloat16ELi4ELNS0_9ADAM_MODEE1ELb0EEEJPKfdddddbSB_SB_EEEvT_T0_DpT1_.has_indirect_call, 0
	.section	.AMDGPU.csdata,"",@progbits
; Kernel info:
; codeLenInByte = 9416
; TotalNumSgprs: 43
; NumVgprs: 70
; ScratchSize: 0
; MemoryBound: 0
; FloatMode: 240
; IeeeMode: 1
; LDSByteSize: 0 bytes/workgroup (compile time only)
; SGPRBlocks: 5
; VGPRBlocks: 17
; NumSGPRsForWavesPerEU: 43
; NumVGPRsForWavesPerEU: 70
; Occupancy: 3
; WaveLimiterHint : 0
; COMPUTE_PGM_RSRC2:SCRATCH_EN: 0
; COMPUTE_PGM_RSRC2:USER_SGPR: 6
; COMPUTE_PGM_RSRC2:TRAP_HANDLER: 0
; COMPUTE_PGM_RSRC2:TGID_X_EN: 1
; COMPUTE_PGM_RSRC2:TGID_Y_EN: 0
; COMPUTE_PGM_RSRC2:TGID_Z_EN: 0
; COMPUTE_PGM_RSRC2:TIDIG_COMP_CNT: 0
	.section	.AMDGPU.gpr_maximums,"",@progbits
	.set amdgpu.max_num_vgpr, 0
	.set amdgpu.max_num_agpr, 0
	.set amdgpu.max_num_sgpr, 0
	.section	.AMDGPU.csdata,"",@progbits
	.type	__hip_cuid_aa2f56549467340a,@object ; @__hip_cuid_aa2f56549467340a
	.section	.bss,"aw",@nobits
	.globl	__hip_cuid_aa2f56549467340a
__hip_cuid_aa2f56549467340a:
	.byte	0                               ; 0x0
	.size	__hip_cuid_aa2f56549467340a, 1

	.ident	"AMD clang version 22.0.0git (https://github.com/RadeonOpenCompute/llvm-project roc-7.2.4 26084 f58b06dce1f9c15707c5f808fd002e18c2accf7e)"
	.section	".note.GNU-stack","",@progbits
	.addrsig
	.addrsig_sym __hip_cuid_aa2f56549467340a
	.amdgpu_metadata
---
amdhsa.kernels:
  - .args:
      - .offset:         0
        .size:           3336
        .value_kind:     by_value
      - .offset:         3336
        .size:           1
        .value_kind:     by_value
      - .address_space:  global
        .offset:         3344
        .size:           8
        .value_kind:     global_buffer
      - .offset:         3352
        .size:           8
        .value_kind:     by_value
      - .offset:         3360
        .size:           8
        .value_kind:     by_value
      - .offset:         3368
        .size:           8
        .value_kind:     by_value
      - .offset:         3376
        .size:           8
        .value_kind:     by_value
      - .offset:         3384
        .size:           8
        .value_kind:     by_value
      - .offset:         3392
        .size:           1
        .value_kind:     by_value
      - .address_space:  global
        .offset:         3400
        .size:           8
        .value_kind:     global_buffer
      - .address_space:  global
        .offset:         3408
        .size:           8
        .value_kind:     global_buffer
      - .offset:         3416
        .size:           4
        .value_kind:     hidden_block_count_x
      - .offset:         3420
        .size:           4
        .value_kind:     hidden_block_count_y
      - .offset:         3424
        .size:           4
        .value_kind:     hidden_block_count_z
      - .offset:         3428
        .size:           2
        .value_kind:     hidden_group_size_x
      - .offset:         3430
        .size:           2
        .value_kind:     hidden_group_size_y
      - .offset:         3432
        .size:           2
        .value_kind:     hidden_group_size_z
      - .offset:         3434
        .size:           2
        .value_kind:     hidden_remainder_x
      - .offset:         3436
        .size:           2
        .value_kind:     hidden_remainder_y
      - .offset:         3438
        .size:           2
        .value_kind:     hidden_remainder_z
      - .offset:         3456
        .size:           8
        .value_kind:     hidden_global_offset_x
      - .offset:         3464
        .size:           8
        .value_kind:     hidden_global_offset_y
      - .offset:         3472
        .size:           8
        .value_kind:     hidden_global_offset_z
      - .offset:         3480
        .size:           2
        .value_kind:     hidden_grid_dims
    .group_segment_fixed_size: 0
    .kernarg_segment_align: 8
    .kernarg_segment_size: 3672
    .language:       OpenCL C
    .language_version:
      - 2
      - 0
    .max_flat_workgroup_size: 512
    .name:           _ZN2at6native12_GLOBAL__N_125multi_tensor_apply_kernelINS1_32FusedOptimizerTensorListMetadataILi4EEENS1_22FusedAdamMathFunctorMPIfffN3c108BFloat16ES7_fLi4ELNS0_9ADAM_MODEE1ELb0EEEJPKfdddddbSB_SB_EEEvT_T0_DpT1_
    .private_segment_fixed_size: 0
    .sgpr_count:     100
    .sgpr_spill_count: 0
    .symbol:         _ZN2at6native12_GLOBAL__N_125multi_tensor_apply_kernelINS1_32FusedOptimizerTensorListMetadataILi4EEENS1_22FusedAdamMathFunctorMPIfffN3c108BFloat16ES7_fLi4ELNS0_9ADAM_MODEE1ELb0EEEJPKfdddddbSB_SB_EEEvT_T0_DpT1_.kd
    .uniform_work_group_size: 1
    .uses_dynamic_stack: false
    .vgpr_count:     71
    .vgpr_spill_count: 0
    .wavefront_size: 64
  - .args:
      - .offset:         0
        .size:           3336
        .value_kind:     by_value
      - .offset:         3336
        .size:           1
        .value_kind:     by_value
      - .address_space:  global
        .offset:         3344
        .size:           8
        .value_kind:     global_buffer
      - .offset:         3352
        .size:           8
        .value_kind:     by_value
      - .offset:         3360
        .size:           8
        .value_kind:     by_value
      - .offset:         3368
        .size:           8
        .value_kind:     by_value
      - .offset:         3376
        .size:           8
        .value_kind:     by_value
      - .offset:         3384
        .size:           8
        .value_kind:     by_value
      - .offset:         3392
        .size:           1
        .value_kind:     by_value
      - .address_space:  global
        .offset:         3400
        .size:           8
        .value_kind:     global_buffer
      - .address_space:  global
        .offset:         3408
        .size:           8
        .value_kind:     global_buffer
      - .offset:         3416
        .size:           4
        .value_kind:     hidden_block_count_x
      - .offset:         3420
        .size:           4
        .value_kind:     hidden_block_count_y
      - .offset:         3424
        .size:           4
        .value_kind:     hidden_block_count_z
      - .offset:         3428
        .size:           2
        .value_kind:     hidden_group_size_x
      - .offset:         3430
        .size:           2
        .value_kind:     hidden_group_size_y
      - .offset:         3432
        .size:           2
        .value_kind:     hidden_group_size_z
      - .offset:         3434
        .size:           2
        .value_kind:     hidden_remainder_x
      - .offset:         3436
        .size:           2
        .value_kind:     hidden_remainder_y
      - .offset:         3438
        .size:           2
        .value_kind:     hidden_remainder_z
      - .offset:         3456
        .size:           8
        .value_kind:     hidden_global_offset_x
      - .offset:         3464
        .size:           8
        .value_kind:     hidden_global_offset_y
      - .offset:         3472
        .size:           8
        .value_kind:     hidden_global_offset_z
      - .offset:         3480
        .size:           2
        .value_kind:     hidden_grid_dims
    .group_segment_fixed_size: 0
    .kernarg_segment_align: 8
    .kernarg_segment_size: 3672
    .language:       OpenCL C
    .language_version:
      - 2
      - 0
    .max_flat_workgroup_size: 512
    .name:           _ZN2at6native12_GLOBAL__N_125multi_tensor_apply_kernelINS1_32FusedOptimizerTensorListMetadataILi4EEENS1_20FusedAdamMathFunctorIdLi4ELNS0_9ADAM_MODEE1ELb0EEEJPKfdddddbS9_S9_EEEvT_T0_DpT1_
    .private_segment_fixed_size: 0
    .sgpr_count:     95
    .sgpr_spill_count: 0
    .symbol:         _ZN2at6native12_GLOBAL__N_125multi_tensor_apply_kernelINS1_32FusedOptimizerTensorListMetadataILi4EEENS1_20FusedAdamMathFunctorIdLi4ELNS0_9ADAM_MODEE1ELb0EEEJPKfdddddbS9_S9_EEEvT_T0_DpT1_.kd
    .uniform_work_group_size: 1
    .uses_dynamic_stack: false
    .vgpr_count:     99
    .vgpr_spill_count: 0
    .wavefront_size: 64
  - .args:
      - .offset:         0
        .size:           3336
        .value_kind:     by_value
      - .offset:         3336
        .size:           1
        .value_kind:     by_value
      - .address_space:  global
        .offset:         3344
        .size:           8
        .value_kind:     global_buffer
      - .offset:         3352
        .size:           8
        .value_kind:     by_value
      - .offset:         3360
        .size:           8
        .value_kind:     by_value
      - .offset:         3368
        .size:           8
        .value_kind:     by_value
      - .offset:         3376
        .size:           8
        .value_kind:     by_value
      - .offset:         3384
        .size:           8
        .value_kind:     by_value
      - .offset:         3392
        .size:           1
        .value_kind:     by_value
      - .address_space:  global
        .offset:         3400
        .size:           8
        .value_kind:     global_buffer
      - .address_space:  global
        .offset:         3408
        .size:           8
        .value_kind:     global_buffer
      - .offset:         3416
        .size:           4
        .value_kind:     hidden_block_count_x
      - .offset:         3420
        .size:           4
        .value_kind:     hidden_block_count_y
      - .offset:         3424
        .size:           4
        .value_kind:     hidden_block_count_z
      - .offset:         3428
        .size:           2
        .value_kind:     hidden_group_size_x
      - .offset:         3430
        .size:           2
        .value_kind:     hidden_group_size_y
      - .offset:         3432
        .size:           2
        .value_kind:     hidden_group_size_z
      - .offset:         3434
        .size:           2
        .value_kind:     hidden_remainder_x
      - .offset:         3436
        .size:           2
        .value_kind:     hidden_remainder_y
      - .offset:         3438
        .size:           2
        .value_kind:     hidden_remainder_z
      - .offset:         3456
        .size:           8
        .value_kind:     hidden_global_offset_x
      - .offset:         3464
        .size:           8
        .value_kind:     hidden_global_offset_y
      - .offset:         3472
        .size:           8
        .value_kind:     hidden_global_offset_z
      - .offset:         3480
        .size:           2
        .value_kind:     hidden_grid_dims
    .group_segment_fixed_size: 0
    .kernarg_segment_align: 8
    .kernarg_segment_size: 3672
    .language:       OpenCL C
    .language_version:
      - 2
      - 0
    .max_flat_workgroup_size: 512
    .name:           _ZN2at6native12_GLOBAL__N_125multi_tensor_apply_kernelINS1_32FusedOptimizerTensorListMetadataILi4EEENS1_20FusedAdamMathFunctorIfLi4ELNS0_9ADAM_MODEE1ELb0EEEJPKfdddddbS9_S9_EEEvT_T0_DpT1_
    .private_segment_fixed_size: 0
    .sgpr_count:     46
    .sgpr_spill_count: 0
    .symbol:         _ZN2at6native12_GLOBAL__N_125multi_tensor_apply_kernelINS1_32FusedOptimizerTensorListMetadataILi4EEENS1_20FusedAdamMathFunctorIfLi4ELNS0_9ADAM_MODEE1ELb0EEEJPKfdddddbS9_S9_EEEvT_T0_DpT1_.kd
    .uniform_work_group_size: 1
    .uses_dynamic_stack: false
    .vgpr_count:     46
    .vgpr_spill_count: 0
    .wavefront_size: 64
  - .args:
      - .offset:         0
        .size:           3336
        .value_kind:     by_value
      - .offset:         3336
        .size:           1
        .value_kind:     by_value
      - .address_space:  global
        .offset:         3344
        .size:           8
        .value_kind:     global_buffer
      - .offset:         3352
        .size:           8
        .value_kind:     by_value
      - .offset:         3360
        .size:           8
        .value_kind:     by_value
      - .offset:         3368
        .size:           8
        .value_kind:     by_value
      - .offset:         3376
        .size:           8
        .value_kind:     by_value
      - .offset:         3384
        .size:           8
        .value_kind:     by_value
      - .offset:         3392
        .size:           1
        .value_kind:     by_value
      - .address_space:  global
        .offset:         3400
        .size:           8
        .value_kind:     global_buffer
      - .address_space:  global
        .offset:         3408
        .size:           8
        .value_kind:     global_buffer
      - .offset:         3416
        .size:           4
        .value_kind:     hidden_block_count_x
      - .offset:         3420
        .size:           4
        .value_kind:     hidden_block_count_y
      - .offset:         3424
        .size:           4
        .value_kind:     hidden_block_count_z
      - .offset:         3428
        .size:           2
        .value_kind:     hidden_group_size_x
      - .offset:         3430
        .size:           2
        .value_kind:     hidden_group_size_y
      - .offset:         3432
        .size:           2
        .value_kind:     hidden_group_size_z
      - .offset:         3434
        .size:           2
        .value_kind:     hidden_remainder_x
      - .offset:         3436
        .size:           2
        .value_kind:     hidden_remainder_y
      - .offset:         3438
        .size:           2
        .value_kind:     hidden_remainder_z
      - .offset:         3456
        .size:           8
        .value_kind:     hidden_global_offset_x
      - .offset:         3464
        .size:           8
        .value_kind:     hidden_global_offset_y
      - .offset:         3472
        .size:           8
        .value_kind:     hidden_global_offset_z
      - .offset:         3480
        .size:           2
        .value_kind:     hidden_grid_dims
    .group_segment_fixed_size: 0
    .kernarg_segment_align: 8
    .kernarg_segment_size: 3672
    .language:       OpenCL C
    .language_version:
      - 2
      - 0
    .max_flat_workgroup_size: 512
    .name:           _ZN2at6native12_GLOBAL__N_125multi_tensor_apply_kernelINS1_32FusedOptimizerTensorListMetadataILi4EEENS1_20FusedAdamMathFunctorIN3c104HalfELi4ELNS0_9ADAM_MODEE1ELb0EEEJPKfdddddbSB_SB_EEEvT_T0_DpT1_
    .private_segment_fixed_size: 0
    .sgpr_count:     48
    .sgpr_spill_count: 0
    .symbol:         _ZN2at6native12_GLOBAL__N_125multi_tensor_apply_kernelINS1_32FusedOptimizerTensorListMetadataILi4EEENS1_20FusedAdamMathFunctorIN3c104HalfELi4ELNS0_9ADAM_MODEE1ELb0EEEJPKfdddddbSB_SB_EEEvT_T0_DpT1_.kd
    .uniform_work_group_size: 1
    .uses_dynamic_stack: false
    .vgpr_count:     70
    .vgpr_spill_count: 0
    .wavefront_size: 64
  - .args:
      - .offset:         0
        .size:           3336
        .value_kind:     by_value
      - .offset:         3336
        .size:           1
        .value_kind:     by_value
      - .address_space:  global
        .offset:         3344
        .size:           8
        .value_kind:     global_buffer
      - .offset:         3352
        .size:           8
        .value_kind:     by_value
      - .offset:         3360
        .size:           8
        .value_kind:     by_value
      - .offset:         3368
        .size:           8
        .value_kind:     by_value
      - .offset:         3376
        .size:           8
        .value_kind:     by_value
      - .offset:         3384
        .size:           8
        .value_kind:     by_value
      - .offset:         3392
        .size:           1
        .value_kind:     by_value
      - .address_space:  global
        .offset:         3400
        .size:           8
        .value_kind:     global_buffer
      - .address_space:  global
        .offset:         3408
        .size:           8
        .value_kind:     global_buffer
      - .offset:         3416
        .size:           4
        .value_kind:     hidden_block_count_x
      - .offset:         3420
        .size:           4
        .value_kind:     hidden_block_count_y
      - .offset:         3424
        .size:           4
        .value_kind:     hidden_block_count_z
      - .offset:         3428
        .size:           2
        .value_kind:     hidden_group_size_x
      - .offset:         3430
        .size:           2
        .value_kind:     hidden_group_size_y
      - .offset:         3432
        .size:           2
        .value_kind:     hidden_group_size_z
      - .offset:         3434
        .size:           2
        .value_kind:     hidden_remainder_x
      - .offset:         3436
        .size:           2
        .value_kind:     hidden_remainder_y
      - .offset:         3438
        .size:           2
        .value_kind:     hidden_remainder_z
      - .offset:         3456
        .size:           8
        .value_kind:     hidden_global_offset_x
      - .offset:         3464
        .size:           8
        .value_kind:     hidden_global_offset_y
      - .offset:         3472
        .size:           8
        .value_kind:     hidden_global_offset_z
      - .offset:         3480
        .size:           2
        .value_kind:     hidden_grid_dims
    .group_segment_fixed_size: 0
    .kernarg_segment_align: 8
    .kernarg_segment_size: 3672
    .language:       OpenCL C
    .language_version:
      - 2
      - 0
    .max_flat_workgroup_size: 512
    .name:           _ZN2at6native12_GLOBAL__N_125multi_tensor_apply_kernelINS1_32FusedOptimizerTensorListMetadataILi4EEENS1_20FusedAdamMathFunctorIN3c108BFloat16ELi4ELNS0_9ADAM_MODEE1ELb0EEEJPKfdddddbSB_SB_EEEvT_T0_DpT1_
    .private_segment_fixed_size: 0
    .sgpr_count:     43
    .sgpr_spill_count: 0
    .symbol:         _ZN2at6native12_GLOBAL__N_125multi_tensor_apply_kernelINS1_32FusedOptimizerTensorListMetadataILi4EEENS1_20FusedAdamMathFunctorIN3c108BFloat16ELi4ELNS0_9ADAM_MODEE1ELb0EEEJPKfdddddbSB_SB_EEEvT_T0_DpT1_.kd
    .uniform_work_group_size: 1
    .uses_dynamic_stack: false
    .vgpr_count:     70
    .vgpr_spill_count: 0
    .wavefront_size: 64
amdhsa.target:   amdgcn-amd-amdhsa--gfx906
amdhsa.version:
  - 1
  - 2
...

	.end_amdgpu_metadata
